;; amdgpu-corpus repo=ROCm/rocFFT kind=compiled arch=gfx950 opt=O3
	.text
	.amdgcn_target "amdgcn-amd-amdhsa--gfx950"
	.amdhsa_code_object_version 6
	.protected	bluestein_single_fwd_len91_dim1_sp_op_CI_CI ; -- Begin function bluestein_single_fwd_len91_dim1_sp_op_CI_CI
	.globl	bluestein_single_fwd_len91_dim1_sp_op_CI_CI
	.p2align	8
	.type	bluestein_single_fwd_len91_dim1_sp_op_CI_CI,@function
bluestein_single_fwd_len91_dim1_sp_op_CI_CI: ; @bluestein_single_fwd_len91_dim1_sp_op_CI_CI
; %bb.0:
	s_load_dwordx4 s[16:19], s[0:1], 0x28
	v_mul_u32_u24_e32 v1, 0x13b2, v0
	v_lshrrev_b32_e32 v2, 16, v1
	v_mad_u64_u32 v[46:47], s[2:3], s2, 19, v[2:3]
	v_mov_b32_e32 v43, 0
	v_mov_b32_e32 v47, v43
	s_waitcnt lgkmcnt(0)
	v_cmp_gt_u64_e32 vcc, s[16:17], v[46:47]
	s_and_saveexec_b64 s[2:3], vcc
	s_cbranch_execz .LBB0_10
; %bb.1:
	s_load_dwordx4 s[4:7], s[0:1], 0x18
	s_load_dwordx4 s[8:11], s[0:1], 0x0
	v_mul_lo_u16_e32 v1, 13, v2
	v_sub_u16_e32 v47, v0, v1
	v_mov_b32_e32 v4, s18
	s_waitcnt lgkmcnt(0)
	s_load_dwordx4 s[12:15], s[4:5], 0x0
	v_mov_b32_e32 v5, s19
	v_mov_b32_e32 v14, 0x68
	v_lshlrev_b32_e32 v42, 3, v47
	s_mov_b32 s16, 0xbf08b237
	s_waitcnt lgkmcnt(0)
	v_mad_u64_u32 v[0:1], s[2:3], s14, v46, 0
	v_mov_b32_e32 v2, v1
	v_mad_u64_u32 v[2:3], s[2:3], s15, v46, v[2:3]
	v_mov_b32_e32 v1, v2
	;; [unrolled: 2-line block ×4, first 2 shown]
	v_lshl_add_u64 v[0:1], v[0:1], 3, v[4:5]
	v_lshl_add_u64 v[0:1], v[2:3], 3, v[0:1]
	global_load_dwordx2 v[2:3], v[0:1], off
	v_mad_u64_u32 v[0:1], s[2:3], s12, v14, v[0:1]
	s_mul_i32 s4, s13, 0x68
	v_add_u32_e32 v1, s4, v1
	v_mad_u64_u32 v[4:5], s[2:3], s12, v14, v[0:1]
	v_add_u32_e32 v5, s4, v5
	global_load_dwordx2 v[58:59], v42, s[8:9]
	global_load_dwordx2 v[56:57], v42, s[8:9] offset:104
	global_load_dwordx2 v[6:7], v[4:5], off
	v_mad_u64_u32 v[4:5], s[2:3], s12, v14, v[4:5]
	global_load_dwordx2 v[0:1], v[0:1], off
	v_add_u32_e32 v5, s4, v5
	global_load_dwordx2 v[54:55], v42, s[8:9] offset:208
	global_load_dwordx2 v[52:53], v42, s[8:9] offset:312
	global_load_dwordx2 v[8:9], v[4:5], off
	v_mad_u64_u32 v[4:5], s[2:3], s12, v14, v[4:5]
	v_add_u32_e32 v5, s4, v5
	global_load_dwordx2 v[10:11], v[4:5], off
	global_load_dwordx2 v[50:51], v42, s[8:9] offset:416
	v_mad_u64_u32 v[4:5], s[2:3], s12, v14, v[4:5]
	v_add_u32_e32 v5, s4, v5
	global_load_dwordx2 v[12:13], v[4:5], off
	global_load_dwordx2 v[48:49], v42, s[8:9] offset:520
	v_mad_u64_u32 v[4:5], s[2:3], s12, v14, v[4:5]
	v_add_u32_e32 v5, s4, v5
	global_load_dwordx2 v[44:45], v42, s[8:9] offset:624
	global_load_dwordx2 v[14:15], v[4:5], off
	s_mov_b32 s2, 0xaf286bcb
	v_mul_hi_u32 v4, v46, s2
	v_sub_u32_e32 v5, v46, v4
	v_lshrrev_b32_e32 v5, 1, v5
	v_add_u32_e32 v4, v5, v4
	v_lshrrev_b32_e32 v4, 4, v4
	v_mul_lo_u32 v4, v4, 19
	v_sub_u32_e32 v4, v46, v4
	v_mul_u32_u24_e32 v4, 0x5b, v4
	v_lshlrev_b32_e32 v227, 3, v4
	v_add_u32_e32 v226, v42, v227
	s_load_dwordx4 s[4:7], s[6:7], 0x0
	s_mov_b32 s12, 0x3f3bfb3b
	s_load_dwordx2 s[2:3], s[0:1], 0x38
	s_mov_b32 s0, 0x3d64c772
	s_mov_b32 s18, 0x3f5ff5aa
	;; [unrolled: 1-line block ×5, first 2 shown]
	v_cmp_gt_u16_e32 vcc, 7, v47
	s_waitcnt vmcnt(12)
	v_mul_f32_e32 v4, v3, v59
	v_mul_f32_e32 v5, v2, v59
	v_fmac_f32_e32 v4, v2, v58
	v_fma_f32 v5, v3, v58, -v5
	s_waitcnt vmcnt(9)
	v_mul_f32_e32 v2, v1, v57
	v_mul_f32_e32 v3, v0, v57
	v_fmac_f32_e32 v2, v0, v56
	v_fma_f32 v3, v1, v56, -v3
	ds_write2_b64 v226, v[4:5], v[2:3] offset1:13
	s_waitcnt vmcnt(8)
	v_mul_f32_e32 v0, v7, v55
	v_mul_f32_e32 v1, v6, v55
	s_waitcnt vmcnt(6)
	v_mul_f32_e32 v2, v9, v53
	v_mul_f32_e32 v3, v8, v53
	v_fmac_f32_e32 v0, v6, v54
	v_fma_f32 v1, v7, v54, -v1
	v_fmac_f32_e32 v2, v8, v52
	v_fma_f32 v3, v9, v52, -v3
	ds_write2_b64 v226, v[0:1], v[2:3] offset0:26 offset1:39
	s_waitcnt vmcnt(4)
	v_mul_f32_e32 v0, v11, v51
	v_mul_f32_e32 v1, v10, v51
	s_waitcnt vmcnt(2)
	v_mul_f32_e32 v2, v13, v49
	v_mul_f32_e32 v3, v12, v49
	v_fmac_f32_e32 v0, v10, v50
	v_fma_f32 v1, v11, v50, -v1
	v_fmac_f32_e32 v2, v12, v48
	v_fma_f32 v3, v13, v48, -v3
	ds_write2_b64 v226, v[0:1], v[2:3] offset0:52 offset1:65
	s_waitcnt vmcnt(0)
	v_mul_f32_e32 v0, v15, v45
	v_mul_f32_e32 v1, v14, v45
	v_fmac_f32_e32 v0, v14, v44
	v_fma_f32 v1, v15, v44, -v1
	ds_write_b64 v226, v[0:1] offset:624
	s_waitcnt lgkmcnt(0)
	s_barrier
	ds_read2_b64 v[0:3], v226 offset1:13
	ds_read2_b64 v[4:7], v226 offset0:26 offset1:39
	ds_read2_b64 v[8:11], v226 offset0:52 offset1:65
	ds_read_b64 v[12:13], v226 offset:624
	s_waitcnt lgkmcnt(0)
	s_barrier
	v_pk_add_f32 v[18:19], v[4:5], v[10:11] neg_lo:[0,1] neg_hi:[0,1]
	v_pk_add_f32 v[16:17], v[2:3], v[12:13] neg_lo:[0,1] neg_hi:[0,1]
	v_pk_add_f32 v[2:3], v[2:3], v[12:13]
	v_pk_add_f32 v[4:5], v[4:5], v[10:11]
	;; [unrolled: 1-line block ×4, first 2 shown]
	v_pk_add_f32 v[6:7], v[8:9], v[6:7] neg_lo:[0,1] neg_hi:[0,1]
	v_pk_add_f32 v[12:13], v[4:5], v[2:3] op_sel:[1,1] op_sel_hi:[0,0] neg_lo:[0,1] neg_hi:[0,1]
	v_pk_add_f32 v[4:5], v[14:15], v[4:5] op_sel:[1,1] op_sel_hi:[0,0] neg_lo:[0,1] neg_hi:[0,1]
	v_pk_add_f32 v[10:11], v[14:15], v[10:11]
	v_pk_add_f32 v[8:9], v[18:19], v[16:17] neg_lo:[0,1] neg_hi:[0,1]
	v_sub_f32_e32 v32, v2, v14
	v_pk_add_f32 v[20:21], v[6:7], v[18:19]
	v_pk_add_f32 v[18:19], v[6:7], v[18:19] neg_lo:[0,1] neg_hi:[0,1]
	v_pk_add_f32 v[60:61], v[0:1], v[10:11]
	v_pk_mul_f32 v[22:23], v[4:5], s[0:1] op_sel_hi:[1,0]
	v_pk_mul_f32 v[26:27], v[12:13], s[12:13] op_sel_hi:[1,0]
	s_mov_b32 s1, 0xbf4a47b2
	v_sub_f32_e32 v7, v17, v7
	v_pk_add_f32 v[20:21], v[20:21], v[16:17]
	v_pk_mul_f32 v[24:25], v[18:19], s[16:17] op_sel_hi:[1,0]
	v_pk_mul_f32 v[30:31], v[8:9], s[18:19] op_sel_hi:[1,0]
	v_fmamk_f32 v2, v10, 0xbf955555, v60
	v_fma_f32 v10, v32, s1, -v27
	s_mov_b32 s1, 0xbeae86e6
	v_pk_mul_f32 v[28:29], v[20:21], s[14:15] op_sel_hi:[1,0]
	v_pk_fma_f32 v[8:9], v[8:9], s[18:19], v[24:25] op_sel_hi:[1,0,1] neg_lo:[0,0,1] neg_hi:[0,0,1]
	v_fmac_f32_e32 v25, 0x3eae86e6, v7
	v_fma_f32 v24, v7, s1, -v31
	v_pk_fma_f32 v[8:9], v[20:21], s[14:15], v[8:9] op_sel_hi:[1,0,1]
	v_pk_add_f32 v[20:21], v[28:29], v[24:25] op_sel:[1,0]
	v_mov_b32_e32 v24, v3
	v_mov_b32_e32 v25, v16
	v_mov_b32_e32 v14, v15
	v_mov_b32_e32 v15, v6
	v_pk_add_f32 v[6:7], v[24:25], v[14:15] neg_lo:[0,1] neg_hi:[0,1]
	v_mul_f32_e32 v1, 0x3f955555, v11
	v_pk_mul_f32 v[14:15], v[6:7], s[20:21]
	v_fmamk_f32 v11, v32, 0x3f4a47b2, v23
	v_pk_fma_f32 v[12:13], v[12:13], s[12:13], v[22:23] op_sel_hi:[1,0,1] neg_lo:[0,0,1] neg_hi:[0,0,1]
	v_xor_b32_e32 v23, 0x80000000, v30
	v_mov_b32_e32 v0, v15
	v_pk_fma_f32 v[16:17], v[18:19], s[16:17], v[0:1] op_sel_hi:[1,0,1]
	v_pk_add_f32 v[0:1], v[60:61], v[0:1] neg_lo:[0,1] neg_hi:[0,1]
	v_pk_fma_f32 v[4:5], v[4:5], s[0:1], v[14:15] op_sel_hi:[1,0,1]
	v_pk_fma_f32 v[6:7], v[6:7], s[20:21], v[22:23] neg_lo:[1,0,0] neg_hi:[1,0,0]
	v_mov_b32_e32 v17, v1
	v_mov_b32_e32 v18, v1
	v_sub_f32_e64 v29, -v14, v26
	v_mov_b32_e32 v5, v7
	v_mov_b32_e32 v0, v1
	;; [unrolled: 1-line block ×3, first 2 shown]
	v_pk_add_f32 v[10:11], v[10:11], v[2:3] op_sel_hi:[1,0]
	v_pk_add_f32 v[6:7], v[28:29], v[16:17]
	v_pk_add_f32 v[0:1], v[4:5], v[0:1]
	;; [unrolled: 1-line block ×3, first 2 shown]
	v_mov_b32_e32 v19, v2
	v_pk_add_f32 v[24:25], v[10:11], v[20:21] neg_lo:[0,1] neg_hi:[0,1]
	v_mov_b32_e32 v4, v7
	v_mov_b32_e32 v5, v0
	;; [unrolled: 1-line block ×4, first 2 shown]
	v_pk_add_f32 v[2:3], v[12:13], v[18:19]
	v_pk_add_f32 v[28:29], v[4:5], v[10:11] neg_lo:[0,1] neg_hi:[0,1]
	v_pk_add_f32 v[66:67], v[0:1], v[6:7]
	v_mul_lo_u16_e32 v0, 7, v47
	v_pk_add_f32 v[64:65], v[8:9], v[2:3]
	v_pk_add_f32 v[30:31], v[2:3], v[8:9] neg_lo:[0,1] neg_hi:[0,1]
	v_lshl_add_u32 v228, v0, 3, v227
	v_mov_b32_e32 v0, v63
	v_mov_b32_e32 v1, v29
	ds_write2_b64 v228, v[60:61], v[0:1] offset1:1
	v_mov_b32_e32 v0, v62
	v_mov_b32_e32 v1, v28
	;; [unrolled: 1-line block ×4, first 2 shown]
	ds_write2_b64 v228, v[0:1], v[2:3] offset0:2 offset1:3
	v_mov_b32_e32 v0, v65
	v_mov_b32_e32 v1, v30
	;; [unrolled: 1-line block ×4, first 2 shown]
	ds_write2_b64 v228, v[0:1], v[2:3] offset0:4 offset1:5
	v_mov_b32_e32 v0, v25
	v_mov_b32_e32 v1, v66
	v_cmp_lt_u16_e64 s[0:1], 6, v47
	ds_write_b64 v228, v[0:1] offset:48
	s_waitcnt lgkmcnt(0)
	s_barrier
	s_and_saveexec_b64 s[12:13], s[0:1]
	s_xor_b64 s[12:13], exec, s[12:13]
	s_or_saveexec_b64 s[12:13], s[12:13]
                                        ; implicit-def: $vgpr32
                                        ; implicit-def: $vgpr26
                                        ; implicit-def: $vgpr34
                                        ; implicit-def: $vgpr70
                                        ; implicit-def: $vgpr72
                                        ; implicit-def: $vgpr38
                                        ; implicit-def: $vgpr74
                                        ; implicit-def: $vgpr78
                                        ; implicit-def: $vgpr68
                                        ; implicit-def: $vgpr76
	s_xor_b64 exec, exec, s[12:13]
	s_cbranch_execz .LBB0_3
; %bb.2:
	ds_read2_b64 v[26:29], v226 offset1:7
	ds_read2_b64 v[0:3], v226 offset0:14 offset1:21
	ds_read2_b64 v[30:33], v226 offset0:42 offset1:49
	;; [unrolled: 1-line block ×5, first 2 shown]
	ds_read_b64 v[68:69], v226 offset:672
	s_waitcnt lgkmcnt(4)
	v_mov_b32_e32 v66, v31
	s_waitcnt lgkmcnt(3)
	v_mov_b32_e32 v67, v25
	v_mov_b32_e32 v64, v3
	;; [unrolled: 1-line block ×9, first 2 shown]
	v_mov_b64_e32 v[60:61], v[26:27]
	v_mov_b32_e32 v26, v33
	s_waitcnt lgkmcnt(2)
	v_mov_b32_e32 v70, v35
	v_mov_b32_e32 v72, v37
	s_waitcnt lgkmcnt(1)
	v_mov_b32_e32 v74, v39
	;; [unrolled: 3-line block ×3, first 2 shown]
.LBB0_3:
	s_or_b64 exec, exec, s[12:13]
	v_add_u32_e32 v0, -7, v47
	v_cndmask_b32_e32 v0, v0, v47, vcc
	v_mul_hi_i32_i24_e32 v1, 12, v0
	v_mul_i32_i24_e32 v0, 12, v0
	v_lshl_add_u64 v[80:81], v[0:1], 3, s[10:11]
	global_load_dwordx4 v[0:3], v[80:81], off offset:32
	global_load_dwordx4 v[4:7], v[80:81], off offset:48
	;; [unrolled: 1-line block ×4, first 2 shown]
	global_load_dwordx4 v[12:15], v[80:81], off
	global_load_dwordx4 v[16:19], v[80:81], off offset:16
	s_mov_b32 s16, 0xbf52af12
	s_mov_b32 s12, 0x3f116cb1
	;; [unrolled: 1-line block ×14, first 2 shown]
	s_waitcnt vmcnt(5)
	v_pk_mul_f32 v[80:81], v[66:67], v[0:1] op_sel:[1,0]
	v_pk_mul_f32 v[82:83], v[66:67], v[2:3] op_sel_hi:[0,1]
	s_waitcnt vmcnt(4)
	v_pk_mul_f32 v[26:27], v[26:27], v[4:5] op_sel_hi:[0,1]
	v_pk_mul_f32 v[84:85], v[70:71], v[6:7] op_sel_hi:[0,1]
	s_waitcnt vmcnt(3)
	v_pk_mul_f32 v[86:87], v[72:73], v[8:9] op_sel_hi:[0,1]
	;; [unrolled: 3-line block ×3, first 2 shown]
	s_waitcnt vmcnt(1)
	v_pk_mul_f32 v[90:91], v[28:29], v[12:13] op_sel:[1,0]
	v_pk_mul_f32 v[28:29], v[28:29], v[14:15] op_sel_hi:[0,1]
	s_waitcnt vmcnt(0)
	v_pk_mul_f32 v[94:95], v[30:31], v[18:19] op_sel_hi:[0,1]
	v_pk_mul_f32 v[96:97], v[76:77], v[22:23] op_sel_hi:[0,1]
	;; [unrolled: 1-line block ×3, first 2 shown]
	v_pk_fma_f32 v[66:67], v[24:25], v[0:1], v[80:81] op_sel:[0,0,1] op_sel_hi:[1,1,0] neg_lo:[0,0,1] neg_hi:[0,0,1]
	v_pk_fma_f32 v[80:81], v[24:25], v[0:1], v[80:81] op_sel:[0,0,1] op_sel_hi:[0,1,0]
	v_pk_fma_f32 v[70:71], v[24:25], v[2:3], v[82:83] op_sel:[1,0,1] op_sel_hi:[1,1,0] neg_lo:[0,0,1] neg_hi:[0,0,1]
	v_pk_fma_f32 v[24:25], v[24:25], v[2:3], v[82:83] op_sel:[1,0,1] op_sel_hi:[1,1,0]
	;; [unrolled: 2-line block ×11, first 2 shown]
	v_mov_b32_e32 v77, v99
	v_mov_b32_e32 v41, v65
	v_pk_fma_f32 v[88:89], v[30:31], v[16:17], v[92:93] op_sel:[1,0,1] op_sel_hi:[1,1,0] neg_lo:[0,0,1] neg_hi:[0,0,1]
	v_pk_fma_f32 v[30:31], v[30:31], v[16:17], v[92:93] op_sel:[1,0,1] op_sel_hi:[1,1,0]
	v_mov_b32_e32 v83, v29
	v_mov_b32_e32 v91, v63
	;; [unrolled: 1-line block ×3, first 2 shown]
	v_pk_add_f32 v[62:63], v[76:77], v[40:41] neg_lo:[0,1] neg_hi:[0,1]
	v_mov_b32_e32 v89, v31
	v_mov_b32_e32 v71, v25
	;; [unrolled: 1-line block ×4, first 2 shown]
	v_pk_add_f32 v[34:35], v[76:77], v[40:41]
	v_pk_add_f32 v[198:199], v[82:83], v[38:39] neg_lo:[0,1] neg_hi:[0,1]
	v_pk_mul_f32 v[24:25], v[62:63], s[16:17] op_sel:[1,0] op_sel_hi:[0,0]
	v_mov_b32_e32 v73, v27
	v_mov_b32_e32 v75, v85
	v_pk_add_f32 v[196:197], v[82:83], v[38:39]
	v_pk_add_f32 v[210:211], v[88:89], v[36:37] neg_lo:[0,1] neg_hi:[0,1]
	v_pk_mul_f32 v[26:27], v[198:199], s[14:15] op_sel:[1,0] op_sel_hi:[0,0]
	v_pk_fma_f32 v[84:85], v[34:35], s[12:13], v[24:25] op_sel_hi:[1,0,1]
	v_pk_fma_f32 v[86:87], v[34:35], s[12:13], v[24:25] op_sel_hi:[1,0,1] neg_lo:[0,0,1] neg_hi:[0,0,1]
	v_mov_b32_e32 v67, v81
	v_pk_add_f32 v[200:201], v[88:89], v[36:37]
	v_pk_add_f32 v[214:215], v[90:91], v[74:75] neg_lo:[0,1] neg_hi:[0,1]
	v_pk_mul_f32 v[28:29], v[210:211], s[20:21] op_sel:[1,0] op_sel_hi:[0,0]
	v_pk_fma_f32 v[78:79], v[196:197], s[10:11], v[26:27] op_sel_hi:[1,0,1]
	v_pk_fma_f32 v[80:81], v[196:197], s[10:11], v[26:27] op_sel_hi:[1,0,1] neg_lo:[0,0,1] neg_hi:[0,0,1]
	v_mov_b32_e32 v24, v84
	v_mov_b32_e32 v25, v87
	v_pk_add_f32 v[216:217], v[90:91], v[74:75]
	v_pk_mul_f32 v[30:31], v[214:215], s[30:31] op_sel:[1,0] op_sel_hi:[0,0]
	v_pk_fma_f32 v[64:65], v[200:201], s[18:19], v[28:29] op_sel_hi:[1,0,1]
	v_pk_fma_f32 v[68:69], v[200:201], s[18:19], v[28:29] op_sel_hi:[1,0,1] neg_lo:[0,0,1] neg_hi:[0,0,1]
	v_mov_b32_e32 v26, v78
	v_mov_b32_e32 v27, v81
	v_pk_add_f32 v[24:25], v[60:61], v[24:25]
	v_mov_b32_e32 v28, v64
	v_mov_b32_e32 v29, v69
	v_pk_add_f32 v[24:25], v[26:27], v[24:25]
	v_pk_fma_f32 v[92:93], v[216:217], s[22:23], v[30:31] op_sel_hi:[1,0,1]
	v_pk_fma_f32 v[94:95], v[216:217], s[22:23], v[30:31] op_sel_hi:[1,0,1] neg_lo:[0,0,1] neg_hi:[0,0,1]
	v_pk_add_f32 v[24:25], v[28:29], v[24:25]
	v_mov_b32_e32 v26, v92
	v_mov_b32_e32 v27, v95
	v_pk_add_f32 v[218:219], v[66:67], v[32:33] neg_lo:[0,1] neg_hi:[0,1]
	v_pk_add_f32 v[24:25], v[26:27], v[24:25]
	v_pk_add_f32 v[220:221], v[66:67], v[32:33]
	v_pk_mul_f32 v[26:27], v[218:219], s[26:27] op_sel:[1,0] op_sel_hi:[0,0]
	v_pk_fma_f32 v[96:97], v[220:221], s[24:25], v[26:27] op_sel_hi:[1,0,1]
	v_pk_fma_f32 v[98:99], v[220:221], s[24:25], v[26:27] op_sel_hi:[1,0,1] neg_lo:[0,0,1] neg_hi:[0,0,1]
	v_mov_b32_e32 v26, v96
	v_mov_b32_e32 v27, v99
	v_pk_add_f32 v[24:25], v[26:27], v[24:25]
	v_pk_mul_f32 v[26:27], v[62:63], s[28:29] op_sel:[1,0] op_sel_hi:[0,0]
	v_pk_fma_f32 v[100:101], v[34:35], s[24:25], v[26:27] op_sel_hi:[1,0,1]
	v_pk_fma_f32 v[102:103], v[34:35], s[24:25], v[26:27] op_sel_hi:[1,0,1] neg_lo:[0,0,1] neg_hi:[0,0,1]
	v_pk_mul_f32 v[28:29], v[198:199], s[20:21] op_sel:[1,0] op_sel_hi:[0,0]
	v_mov_b32_e32 v26, v100
	v_mov_b32_e32 v27, v103
	v_pk_fma_f32 v[104:105], v[196:197], s[18:19], v[28:29] op_sel_hi:[1,0,1]
	v_pk_fma_f32 v[106:107], v[196:197], s[18:19], v[28:29] op_sel_hi:[1,0,1] neg_lo:[0,0,1] neg_hi:[0,0,1]
	v_pk_add_f32 v[26:27], v[60:61], v[26:27]
	v_mov_b32_e32 v28, v104
	v_mov_b32_e32 v29, v107
	v_pk_add_f32 v[26:27], v[28:29], v[26:27]
	v_pk_mul_f32 v[28:29], v[210:211], s[34:35] op_sel:[1,0] op_sel_hi:[0,0]
	v_pk_fma_f32 v[108:109], v[200:201], s[10:11], v[28:29] op_sel_hi:[1,0,1]
	v_pk_fma_f32 v[110:111], v[200:201], s[10:11], v[28:29] op_sel_hi:[1,0,1] neg_lo:[0,0,1] neg_hi:[0,0,1]
	v_mov_b32_e32 v28, v108
	v_mov_b32_e32 v29, v111
	v_pk_add_f32 v[26:27], v[28:29], v[26:27]
	v_pk_mul_f32 v[28:29], v[214:215], s[38:39] op_sel:[1,0] op_sel_hi:[0,0]
	v_pk_fma_f32 v[112:113], v[216:217], s[36:37], v[28:29] op_sel_hi:[1,0,1]
	v_pk_fma_f32 v[114:115], v[216:217], s[36:37], v[28:29] op_sel_hi:[1,0,1] neg_lo:[0,0,1] neg_hi:[0,0,1]
	;; [unrolled: 6-line block ×3, first 2 shown]
	v_mov_b32_e32 v28, v116
	v_mov_b32_e32 v29, v119
	v_pk_add_f32 v[232:233], v[70:71], v[72:73] neg_lo:[0,1] neg_hi:[0,1]
	v_pk_add_f32 v[28:29], v[28:29], v[26:27]
	v_pk_add_f32 v[230:231], v[70:71], v[72:73]
	v_pk_mul_f32 v[26:27], v[232:233], s[38:39] op_sel:[1,0] op_sel_hi:[0,0]
	v_pk_fma_f32 v[140:141], v[230:231], s[36:37], v[26:27] op_sel_hi:[1,0,1]
	v_pk_fma_f32 v[142:143], v[230:231], s[36:37], v[26:27] op_sel_hi:[1,0,1] neg_lo:[0,0,1] neg_hi:[0,0,1]
	s_mov_b32 s34, 0xbf29c268
	v_mov_b32_e32 v26, v140
	v_mov_b32_e32 v27, v143
	v_pk_add_f32 v[26:27], v[26:27], v[24:25]
	v_pk_mul_f32 v[24:25], v[232:233], s[34:35] op_sel:[1,0] op_sel_hi:[0,0]
	v_pk_fma_f32 v[120:121], v[230:231], s[22:23], v[24:25] op_sel_hi:[1,0,1]
	v_pk_fma_f32 v[122:123], v[230:231], s[22:23], v[24:25] op_sel_hi:[1,0,1] neg_lo:[0,0,1] neg_hi:[0,0,1]
	v_mov_b32_e32 v24, v120
	v_mov_b32_e32 v25, v123
	v_pk_add_f32 v[24:25], v[24:25], v[28:29]
	v_pk_mul_f32 v[28:29], v[62:63], s[14:15] op_sel:[1,0] op_sel_hi:[0,0]
	v_pk_fma_f32 v[124:125], v[34:35], s[10:11], v[28:29] op_sel_hi:[1,0,1]
	v_pk_fma_f32 v[126:127], v[34:35], s[10:11], v[28:29] op_sel_hi:[1,0,1] neg_lo:[0,0,1] neg_hi:[0,0,1]
	v_pk_mul_f32 v[30:31], v[198:199], s[30:31] op_sel:[1,0] op_sel_hi:[0,0]
	v_mov_b32_e32 v28, v124
	v_mov_b32_e32 v29, v127
	v_pk_fma_f32 v[128:129], v[196:197], s[22:23], v[30:31] op_sel_hi:[1,0,1]
	v_pk_fma_f32 v[130:131], v[196:197], s[22:23], v[30:31] op_sel_hi:[1,0,1] neg_lo:[0,0,1] neg_hi:[0,0,1]
	v_pk_add_f32 v[28:29], v[60:61], v[28:29]
	v_mov_b32_e32 v30, v128
	v_mov_b32_e32 v31, v131
	v_pk_add_f32 v[28:29], v[30:31], v[28:29]
	v_pk_mul_f32 v[30:31], v[210:211], s[38:39] op_sel:[1,0] op_sel_hi:[0,0]
	v_pk_fma_f32 v[132:133], v[200:201], s[36:37], v[30:31] op_sel_hi:[1,0,1]
	v_pk_fma_f32 v[134:135], v[200:201], s[36:37], v[30:31] op_sel_hi:[1,0,1] neg_lo:[0,0,1] neg_hi:[0,0,1]
	v_mov_b32_e32 v30, v132
	v_mov_b32_e32 v31, v135
	v_pk_add_f32 v[28:29], v[30:31], v[28:29]
	v_pk_mul_f32 v[30:31], v[214:215], s[28:29] op_sel:[1,0] op_sel_hi:[0,0]
	v_pk_fma_f32 v[136:137], v[216:217], s[24:25], v[30:31] op_sel_hi:[1,0,1]
	v_pk_fma_f32 v[138:139], v[216:217], s[24:25], v[30:31] op_sel_hi:[1,0,1] neg_lo:[0,0,1] neg_hi:[0,0,1]
	v_mov_b32_e32 v30, v136
	v_mov_b32_e32 v31, v139
	s_mov_b32 s30, 0x3e750f2a
	v_pk_add_f32 v[28:29], v[30:31], v[28:29]
	v_pk_mul_f32 v[30:31], v[218:219], s[30:31] op_sel:[1,0] op_sel_hi:[0,0]
	v_pk_fma_f32 v[144:145], v[220:221], s[18:19], v[30:31] op_sel_hi:[1,0,1]
	v_pk_fma_f32 v[146:147], v[220:221], s[18:19], v[30:31] op_sel_hi:[1,0,1] neg_lo:[0,0,1] neg_hi:[0,0,1]
	v_mov_b32_e32 v30, v144
	v_mov_b32_e32 v31, v147
	v_pk_add_f32 v[28:29], v[30:31], v[28:29]
	v_pk_mul_f32 v[30:31], v[62:63], s[34:35] op_sel:[1,0] op_sel_hi:[0,0]
	v_pk_fma_f32 v[148:149], v[34:35], s[22:23], v[30:31] op_sel_hi:[1,0,1]
	v_pk_fma_f32 v[150:151], v[34:35], s[22:23], v[30:31] op_sel_hi:[1,0,1] neg_lo:[0,0,1] neg_hi:[0,0,1]
	v_pk_mul_f32 v[154:155], v[198:199], s[26:27] op_sel:[1,0] op_sel_hi:[0,0]
	v_mov_b32_e32 v30, v148
	v_mov_b32_e32 v31, v151
	v_pk_fma_f32 v[152:153], v[196:197], s[24:25], v[154:155] op_sel_hi:[1,0,1]
	v_pk_fma_f32 v[154:155], v[196:197], s[24:25], v[154:155] op_sel_hi:[1,0,1] neg_lo:[0,0,1] neg_hi:[0,0,1]
	v_pk_add_f32 v[30:31], v[60:61], v[30:31]
	v_mov_b32_e32 v156, v152
	v_mov_b32_e32 v157, v155
	v_pk_mul_f32 v[158:159], v[210:211], s[16:17] op_sel:[1,0] op_sel_hi:[0,0]
	v_pk_add_f32 v[30:31], v[156:157], v[30:31]
	v_pk_fma_f32 v[156:157], v[200:201], s[12:13], v[158:159] op_sel_hi:[1,0,1]
	v_pk_fma_f32 v[158:159], v[200:201], s[12:13], v[158:159] op_sel_hi:[1,0,1] neg_lo:[0,0,1] neg_hi:[0,0,1]
	v_mov_b32_e32 v160, v156
	v_mov_b32_e32 v161, v159
	v_pk_mul_f32 v[162:163], v[214:215], s[30:31] op_sel:[1,0] op_sel_hi:[0,0]
	v_pk_add_f32 v[30:31], v[160:161], v[30:31]
	v_pk_fma_f32 v[160:161], v[216:217], s[18:19], v[162:163] op_sel_hi:[1,0,1]
	v_pk_fma_f32 v[162:163], v[216:217], s[18:19], v[162:163] op_sel_hi:[1,0,1] neg_lo:[0,0,1] neg_hi:[0,0,1]
	;; [unrolled: 6-line block ×3, first 2 shown]
	v_mov_b32_e32 v168, v164
	v_mov_b32_e32 v169, v167
	s_mov_b32 s30, 0x3f52af12
	v_pk_add_f32 v[172:173], v[168:169], v[30:31]
	v_pk_mul_f32 v[30:31], v[232:233], s[30:31] op_sel:[1,0] op_sel_hi:[0,0]
	v_pk_fma_f32 v[188:189], v[230:231], s[12:13], v[30:31] op_sel_hi:[1,0,1]
	v_pk_fma_f32 v[190:191], v[230:231], s[12:13], v[30:31] op_sel_hi:[1,0,1] neg_lo:[0,0,1] neg_hi:[0,0,1]
	v_mov_b32_e32 v30, v188
	v_mov_b32_e32 v31, v191
	v_pk_add_f32 v[30:31], v[30:31], v[28:29]
	v_pk_mul_f32 v[28:29], v[232:233], s[14:15] op_sel:[1,0] op_sel_hi:[0,0]
	v_pk_fma_f32 v[168:169], v[230:231], s[10:11], v[28:29] op_sel_hi:[1,0,1]
	v_pk_fma_f32 v[170:171], v[230:231], s[10:11], v[28:29] op_sel_hi:[1,0,1] neg_lo:[0,0,1] neg_hi:[0,0,1]
	v_mov_b32_e32 v28, v168
	v_mov_b32_e32 v29, v171
	v_pk_mul_f32 v[174:175], v[62:63], s[20:21] op_sel:[1,0] op_sel_hi:[0,0]
	v_pk_add_f32 v[28:29], v[28:29], v[172:173]
	v_pk_fma_f32 v[172:173], v[34:35], s[18:19], v[174:175] op_sel_hi:[1,0,1]
	v_pk_fma_f32 v[174:175], v[34:35], s[18:19], v[174:175] op_sel_hi:[1,0,1] neg_lo:[0,0,1] neg_hi:[0,0,1]
	v_mov_b32_e32 v176, v172
	v_mov_b32_e32 v177, v175
	v_pk_mul_f32 v[178:179], v[198:199], s[38:39] op_sel:[1,0] op_sel_hi:[0,0]
	v_pk_add_f32 v[180:181], v[60:61], v[176:177]
	v_pk_fma_f32 v[176:177], v[196:197], s[36:37], v[178:179] op_sel_hi:[1,0,1]
	v_pk_fma_f32 v[178:179], v[196:197], s[36:37], v[178:179] op_sel_hi:[1,0,1] neg_lo:[0,0,1] neg_hi:[0,0,1]
	v_mov_b32_e32 v182, v176
	v_mov_b32_e32 v183, v179
	v_pk_add_f32 v[184:185], v[182:183], v[180:181]
	v_pk_mul_f32 v[182:183], v[210:211], s[34:35] op_sel:[1,0] op_sel_hi:[0,0]
	v_pk_fma_f32 v[180:181], v[200:201], s[22:23], v[182:183] op_sel_hi:[1,0,1]
	v_pk_fma_f32 v[182:183], v[200:201], s[22:23], v[182:183] op_sel_hi:[1,0,1] neg_lo:[0,0,1] neg_hi:[0,0,1]
	v_mov_b32_e32 v186, v180
	v_mov_b32_e32 v187, v183
	v_pk_add_f32 v[192:193], v[186:187], v[184:185]
	v_pk_mul_f32 v[186:187], v[214:215], s[30:31] op_sel:[1,0] op_sel_hi:[0,0]
	;; [unrolled: 6-line block ×3, first 2 shown]
	v_pk_fma_f32 v[192:193], v[220:221], s[10:11], v[194:195] op_sel_hi:[1,0,1]
	v_pk_fma_f32 v[194:195], v[220:221], s[10:11], v[194:195] op_sel_hi:[1,0,1] neg_lo:[0,0,1] neg_hi:[0,0,1]
	s_mov_b32 s30, 0xbeedf032
	v_mov_b32_e32 v204, v192
	v_mov_b32_e32 v205, v195
	v_pk_mul_f32 v[62:63], v[62:63], s[30:31] op_sel:[1,0] op_sel_hi:[0,0]
	v_pk_add_f32 v[234:235], v[204:205], v[202:203]
	v_pk_fma_f32 v[202:203], v[34:35], s[36:37], v[62:63] op_sel_hi:[1,0,1]
	v_pk_fma_f32 v[208:209], v[34:35], s[36:37], v[62:63] op_sel_hi:[1,0,1] neg_lo:[0,0,1] neg_hi:[0,0,1]
	v_pk_mul_f32 v[34:35], v[198:199], s[16:17] op_sel:[1,0] op_sel_hi:[0,0]
	v_pk_fma_f32 v[204:205], v[196:197], s[12:13], v[34:35] op_sel_hi:[1,0,1]
	v_pk_fma_f32 v[206:207], v[196:197], s[12:13], v[34:35] op_sel_hi:[1,0,1] neg_lo:[0,0,1] neg_hi:[0,0,1]
	v_mov_b32_e32 v34, v202
	v_mov_b32_e32 v35, v209
	v_pk_add_f32 v[34:35], v[60:61], v[34:35]
	v_mov_b32_e32 v62, v204
	v_mov_b32_e32 v63, v207
	v_pk_add_f32 v[34:35], v[62:63], v[34:35]
	v_pk_mul_f32 v[62:63], v[210:211], s[28:29] op_sel:[1,0] op_sel_hi:[0,0]
	v_pk_fma_f32 v[210:211], v[200:201], s[24:25], v[62:63] op_sel_hi:[1,0,1]
	v_pk_fma_f32 v[212:213], v[200:201], s[24:25], v[62:63] op_sel_hi:[1,0,1] neg_lo:[0,0,1] neg_hi:[0,0,1]
	v_mov_b32_e32 v62, v210
	v_mov_b32_e32 v63, v213
	v_pk_add_f32 v[34:35], v[62:63], v[34:35]
	v_pk_mul_f32 v[62:63], v[214:215], s[14:15] op_sel:[1,0] op_sel_hi:[0,0]
	v_pk_fma_f32 v[214:215], v[216:217], s[10:11], v[62:63] op_sel_hi:[1,0,1]
	v_pk_fma_f32 v[216:217], v[216:217], s[10:11], v[62:63] op_sel_hi:[1,0,1] neg_lo:[0,0,1] neg_hi:[0,0,1]
	v_mov_b32_e32 v62, v214
	v_mov_b32_e32 v63, v217
	v_pk_add_f32 v[34:35], v[62:63], v[34:35]
	v_pk_mul_f32 v[62:63], v[218:219], s[34:35] op_sel:[1,0] op_sel_hi:[0,0]
	v_pk_fma_f32 v[218:219], v[220:221], s[22:23], v[62:63] op_sel_hi:[1,0,1]
	v_pk_fma_f32 v[220:221], v[220:221], s[22:23], v[62:63] op_sel_hi:[1,0,1] neg_lo:[0,0,1] neg_hi:[0,0,1]
	v_mov_b32_e32 v62, v218
	v_mov_b32_e32 v63, v221
	v_pk_add_f32 v[34:35], v[62:63], v[34:35]
	v_pk_mul_f32 v[62:63], v[232:233], s[20:21] op_sel:[1,0] op_sel_hi:[0,0]
	v_pk_fma_f32 v[222:223], v[230:231], s[18:19], v[62:63] op_sel_hi:[1,0,1]
	v_pk_fma_f32 v[224:225], v[230:231], s[18:19], v[62:63] op_sel_hi:[1,0,1] neg_lo:[0,0,1] neg_hi:[0,0,1]
	v_mov_b32_e32 v62, v222
	v_mov_b32_e32 v63, v225
	v_pk_add_f32 v[62:63], v[62:63], v[34:35]
	v_pk_mul_f32 v[34:35], v[232:233], s[26:27] op_sel:[1,0] op_sel_hi:[0,0]
	v_pk_fma_f32 v[198:199], v[230:231], s[24:25], v[34:35] op_sel_hi:[1,0,1]
	v_pk_fma_f32 v[200:201], v[230:231], s[24:25], v[34:35] op_sel_hi:[1,0,1] neg_lo:[0,0,1] neg_hi:[0,0,1]
	v_mov_b32_e32 v34, v198
	v_mov_b32_e32 v35, v201
	v_pk_add_f32 v[34:35], v[34:35], v[234:235]
	v_lshl_add_u64 v[196:197], s[8:9], 0, v[42:43]
	s_and_saveexec_b64 s[10:11], vcc
	s_cbranch_execz .LBB0_5
; %bb.4:
	v_pk_add_f32 v[76:77], v[60:61], v[76:77]
	v_mov_b32_e32 v209, v203
	v_pk_add_f32 v[76:77], v[76:77], v[82:83]
	v_mov_b32_e32 v87, v85
	;; [unrolled: 2-line block ×9, first 2 shown]
	v_pk_add_f32 v[32:33], v[32:33], v[36:37]
	v_pk_add_f32 v[36:37], v[60:61], v[86:87]
	v_pk_add_f32 v[32:33], v[32:33], v[38:39]
	v_pk_add_f32 v[36:37], v[80:81], v[36:37]
	v_pk_add_f32 v[32:33], v[32:33], v[40:41]
	ds_write_b64 v226, v[32:33]
	v_pk_add_f32 v[32:33], v[60:61], v[208:209]
	v_pk_add_f32 v[36:37], v[68:69], v[36:37]
	;; [unrolled: 1-line block ×5, first 2 shown]
	v_mov_b32_e32 v99, v97
	v_pk_add_f32 v[32:33], v[216:217], v[32:33]
	v_mov_b32_e32 v225, v223
	v_pk_add_f32 v[32:33], v[220:221], v[32:33]
	v_pk_add_f32 v[36:37], v[98:99], v[36:37]
	v_mov_b32_e32 v143, v141
	v_lshl_add_u32 v38, v47, 3, v227
	v_pk_add_f32 v[32:33], v[224:225], v[32:33]
	v_pk_add_f32 v[36:37], v[142:143], v[36:37]
	v_mov_b32_e32 v103, v101
	v_mov_b32_e32 v127, v125
	ds_write2_b64 v38, v[32:33], v[36:37] offset0:7 offset1:14
	v_pk_add_f32 v[32:33], v[60:61], v[102:103]
	v_mov_b32_e32 v107, v105
	v_pk_add_f32 v[36:37], v[60:61], v[126:127]
	v_mov_b32_e32 v131, v129
	;; [unrolled: 2-line block ×10, first 2 shown]
	v_pk_add_f32 v[32:33], v[122:123], v[32:33]
	v_pk_add_f32 v[36:37], v[190:191], v[36:37]
	v_mov_b32_e32 v151, v149
	v_mov_b32_e32 v175, v173
	ds_write2_b64 v38, v[32:33], v[36:37] offset0:21 offset1:28
	v_pk_add_f32 v[32:33], v[60:61], v[150:151]
	v_mov_b32_e32 v155, v153
	v_pk_add_f32 v[36:37], v[60:61], v[174:175]
	v_mov_b32_e32 v179, v177
	;; [unrolled: 2-line block ×10, first 2 shown]
	v_pk_add_f32 v[32:33], v[170:171], v[32:33]
	v_pk_add_f32 v[36:37], v[200:201], v[36:37]
	ds_write2_b64 v38, v[32:33], v[36:37] offset0:35 offset1:42
	ds_write2_b64 v38, v[34:35], v[28:29] offset0:49 offset1:56
	;; [unrolled: 1-line block ×4, first 2 shown]
.LBB0_5:
	s_or_b64 exec, exec, s[10:11]
	s_waitcnt lgkmcnt(0)
	s_barrier
	global_load_dwordx2 v[32:33], v[196:197], off offset:728
	s_add_u32 s8, s8, 0x2d8
	s_addc_u32 s9, s9, 0
	global_load_dwordx2 v[40:41], v42, s[8:9] offset:104
	global_load_dwordx2 v[60:61], v42, s[8:9] offset:208
	;; [unrolled: 1-line block ×6, first 2 shown]
	ds_read2_b64 v[36:39], v226 offset1:13
	s_mov_b32 s8, 0x3d64c772
	s_mov_b32 s14, 0x3f3bfb3b
	;; [unrolled: 1-line block ×9, first 2 shown]
	s_waitcnt vmcnt(6) lgkmcnt(0)
	v_mul_f32_e32 v42, v37, v33
	v_mul_f32_e32 v43, v36, v33
	v_fma_f32 v42, v36, v32, -v42
	v_fmac_f32_e32 v43, v37, v32
	s_waitcnt vmcnt(5)
	v_mul_f32_e32 v32, v39, v41
	v_mul_f32_e32 v33, v38, v41
	v_fma_f32 v32, v38, v40, -v32
	v_fmac_f32_e32 v33, v39, v40
	ds_write2_b64 v226, v[42:43], v[32:33] offset1:13
	ds_read2_b64 v[36:39], v226 offset0:26 offset1:39
	ds_read2_b64 v[40:43], v226 offset0:52 offset1:65
	ds_read_b64 v[32:33], v226 offset:624
	s_waitcnt vmcnt(4) lgkmcnt(2)
	v_mul_f32_e32 v72, v37, v61
	v_mul_f32_e32 v73, v36, v61
	s_waitcnt vmcnt(3)
	v_mul_f32_e32 v74, v39, v65
	v_mul_f32_e32 v61, v38, v65
	s_waitcnt vmcnt(2) lgkmcnt(1)
	v_mul_f32_e32 v75, v41, v67
	v_mul_f32_e32 v65, v40, v67
	s_waitcnt vmcnt(1)
	v_mul_f32_e32 v76, v43, v69
	v_mul_f32_e32 v67, v42, v69
	s_waitcnt vmcnt(0) lgkmcnt(0)
	v_mul_f32_e32 v77, v33, v71
	v_mul_f32_e32 v69, v32, v71
	v_fma_f32 v72, v36, v60, -v72
	v_fmac_f32_e32 v73, v37, v60
	v_fma_f32 v60, v38, v64, -v74
	v_fmac_f32_e32 v61, v39, v64
	;; [unrolled: 2-line block ×5, first 2 shown]
	ds_write2_b64 v226, v[72:73], v[60:61] offset0:26 offset1:39
	ds_write2_b64 v226, v[64:65], v[66:67] offset0:52 offset1:65
	ds_write_b64 v226, v[68:69] offset:624
	s_waitcnt lgkmcnt(0)
	s_barrier
	ds_read2_b64 v[36:39], v226 offset1:13
	ds_read2_b64 v[40:43], v226 offset0:26 offset1:39
	ds_read2_b64 v[64:67], v226 offset0:52 offset1:65
	ds_read_b64 v[32:33], v226 offset:624
	s_waitcnt lgkmcnt(0)
	s_barrier
	v_pk_add_f32 v[60:61], v[42:43], v[64:65]
	v_pk_add_f32 v[68:69], v[38:39], v[32:33] neg_lo:[0,1] neg_hi:[0,1]
	v_pk_add_f32 v[32:33], v[38:39], v[32:33]
	v_pk_add_f32 v[38:39], v[40:41], v[66:67]
	v_pk_add_f32 v[70:71], v[40:41], v[66:67] neg_lo:[0,1] neg_hi:[0,1]
	v_pk_add_f32 v[40:41], v[64:65], v[42:43] neg_lo:[0,1] neg_hi:[0,1]
	v_pk_add_f32 v[64:65], v[38:39], v[32:33]
	v_pk_add_f32 v[42:43], v[70:71], v[68:69] neg_lo:[0,1] neg_hi:[0,1]
	v_pk_add_f32 v[66:67], v[38:39], v[32:33] op_sel:[1,1] op_sel_hi:[0,0] neg_lo:[0,1] neg_hi:[0,1]
	v_sub_f32_e32 v80, v32, v60
	v_pk_add_f32 v[38:39], v[60:61], v[38:39] op_sel:[1,1] op_sel_hi:[0,0] neg_lo:[0,1] neg_hi:[0,1]
	v_pk_add_f32 v[72:73], v[40:41], v[70:71]
	v_pk_add_f32 v[70:71], v[40:41], v[70:71] neg_lo:[0,1] neg_hi:[0,1]
	v_sub_f32_e32 v82, v69, v41
	v_mov_b32_e32 v32, v33
	v_mov_b32_e32 v33, v68
	;; [unrolled: 1-line block ×4, first 2 shown]
	v_pk_add_f32 v[40:41], v[60:61], v[64:65]
	v_pk_add_f32 v[60:61], v[72:73], v[68:69]
	v_pk_mul_f32 v[64:65], v[38:39], s[8:9] op_sel_hi:[1,0]
	v_pk_mul_f32 v[68:69], v[66:67], s[14:15] op_sel_hi:[1,0]
	;; [unrolled: 1-line block ×4, first 2 shown]
	v_pk_add_f32 v[74:75], v[32:33], v[74:75] neg_lo:[0,1] neg_hi:[0,1]
	v_pk_add_f32 v[32:33], v[36:37], v[40:41]
	v_pk_mul_f32 v[78:79], v[60:61], s[10:11] op_sel_hi:[1,0]
	v_fmamk_f32 v81, v80, 0x3f4a47b2, v65
	v_fma_f32 v80, v80, s9, -v69
	v_pk_fma_f32 v[42:43], v[42:43], s[16:17], v[72:73] op_sel_hi:[1,0,1] neg_lo:[0,0,1] neg_hi:[0,0,1]
	v_fmac_f32_e32 v73, 0xbeae86e6, v82
	v_fma_f32 v72, v82, s11, -v77
	v_fmamk_f32 v40, v40, 0xbf955555, v32
	v_pk_fma_f32 v[66:67], v[66:67], s[14:15], v[64:65] op_sel_hi:[1,0,1] neg_lo:[0,0,1] neg_hi:[0,0,1]
	v_xor_b32_e32 v65, 0x80000000, v76
	v_pk_fma_f32 v[76:77], v[60:61], s[10:11], v[42:43] op_sel_hi:[1,0,1]
	v_pk_add_f32 v[42:43], v[78:79], v[72:73] op_sel:[1,0]
	v_pk_add_f32 v[72:73], v[80:81], v[40:41] op_sel_hi:[1,0]
	v_pk_mul_f32 v[80:81], v[74:75], s[18:19]
	v_mul_f32_e32 v37, 0x3f955555, v41
	v_mov_b32_e32 v36, v81
	v_pk_fma_f32 v[70:71], v[70:71], s[12:13], v[36:37] op_sel_hi:[1,0,1]
	v_pk_add_f32 v[36:37], v[32:33], v[36:37] neg_lo:[0,1] neg_hi:[0,1]
	v_pk_fma_f32 v[38:39], v[38:39], s[8:9], v[80:81] op_sel_hi:[1,0,1]
	v_pk_fma_f32 v[64:65], v[74:75], s[18:19], v[64:65] neg_lo:[1,0,0] neg_hi:[1,0,0]
	v_mov_b32_e32 v71, v37
	v_mov_b32_e32 v82, v37
	v_sub_f32_e64 v79, -v80, v68
	v_mov_b32_e32 v39, v65
	v_mov_b32_e32 v36, v37
	;; [unrolled: 1-line block ×4, first 2 shown]
	v_pk_add_f32 v[64:65], v[78:79], v[70:71]
	v_pk_add_f32 v[36:37], v[38:39], v[36:37]
	;; [unrolled: 1-line block ×3, first 2 shown]
	v_mov_b32_e32 v38, v65
	v_mov_b32_e32 v39, v36
	;; [unrolled: 1-line block ×4, first 2 shown]
	v_pk_add_f32 v[60:61], v[72:73], v[42:43]
	v_pk_add_f32 v[38:39], v[38:39], v[66:67] neg_lo:[0,1] neg_hi:[0,1]
	v_pk_add_f32 v[66:67], v[76:77], v[40:41]
	v_pk_add_f32 v[40:41], v[40:41], v[76:77] neg_lo:[0,1] neg_hi:[0,1]
	v_pk_add_f32 v[64:65], v[36:37], v[64:65]
	v_mov_b32_e32 v36, v61
	v_mov_b32_e32 v37, v39
	v_pk_add_f32 v[42:43], v[72:73], v[42:43] neg_lo:[0,1] neg_hi:[0,1]
	ds_write2_b64 v228, v[32:33], v[36:37] offset1:1
	v_mov_b32_e32 v36, v60
	v_mov_b32_e32 v37, v38
	;; [unrolled: 1-line block ×4, first 2 shown]
	ds_write2_b64 v228, v[36:37], v[68:69] offset0:2 offset1:3
	v_mov_b32_e32 v36, v67
	v_mov_b32_e32 v37, v40
	;; [unrolled: 1-line block ×4, first 2 shown]
	ds_write2_b64 v228, v[36:37], v[68:69] offset0:4 offset1:5
	v_mov_b32_e32 v36, v43
	v_mov_b32_e32 v37, v64
	ds_write_b64 v228, v[36:37] offset:48
	s_waitcnt lgkmcnt(0)
	s_barrier
	s_and_saveexec_b64 s[8:9], s[0:1]
	s_xor_b64 s[0:1], exec, s[8:9]
	s_andn2_saveexec_b64 s[0:1], s[0:1]
	s_cbranch_execz .LBB0_7
; %bb.6:
	ds_read2_b64 v[36:39], v226 offset1:7
	ds_read2_b64 v[68:71], v226 offset0:14 offset1:21
	ds_read2_b64 v[32:35], v226 offset0:42 offset1:49
	;; [unrolled: 1-line block ×5, first 2 shown]
	ds_read_b64 v[62:63], v226 offset:672
	s_waitcnt lgkmcnt(4)
	v_mov_b32_e32 v64, v33
	s_waitcnt lgkmcnt(3)
	v_mov_b32_e32 v65, v43
	v_mov_b32_e32 v66, v71
	;; [unrolled: 1-line block ×9, first 2 shown]
	v_mov_b64_e32 v[32:33], v[36:37]
.LBB0_7:
	s_or_b64 exec, exec, s[0:1]
	s_and_saveexec_b64 s[0:1], vcc
	s_cbranch_execz .LBB0_9
; %bb.8:
	s_waitcnt lgkmcnt(0)
	v_pk_mul_f32 v[36:37], v[22:23], v[62:63] op_sel:[0,1]
	v_pk_mul_f32 v[70:71], v[20:21], v[26:27] op_sel:[0,1]
	;; [unrolled: 1-line block ×5, first 2 shown]
	v_pk_mul_f32 v[76:77], v[16:17], v[66:67] op_sel_hi:[1,0]
	v_pk_mul_f32 v[66:67], v[18:19], v[66:67] op_sel:[0,1]
	v_pk_mul_f32 v[80:81], v[6:7], v[28:29] op_sel:[0,1]
	v_pk_fma_f32 v[86:87], v[22:23], v[62:63], v[36:37] op_sel:[0,0,1] op_sel_hi:[1,1,0]
	v_pk_fma_f32 v[22:23], v[22:23], v[62:63], v[36:37] op_sel:[0,0,1] op_sel_hi:[1,0,0] neg_lo:[1,0,0] neg_hi:[1,0,0]
	v_pk_fma_f32 v[36:37], v[20:21], v[26:27], v[70:71] op_sel:[0,0,1] op_sel_hi:[1,1,0]
	v_pk_fma_f32 v[20:21], v[20:21], v[26:27], v[70:71] op_sel:[0,0,1] op_sel_hi:[1,0,0] neg_lo:[1,0,0] neg_hi:[1,0,0]
	v_pk_fma_f32 v[26:27], v[10:11], v[24:25], v[74:75] op_sel:[0,0,1] op_sel_hi:[1,1,0]
	v_pk_fma_f32 v[10:11], v[10:11], v[24:25], v[74:75] op_sel:[0,0,1] op_sel_hi:[1,0,0] neg_lo:[1,0,0] neg_hi:[1,0,0]
	v_pk_fma_f32 v[62:63], v[8:9], v[30:31], v[78:79] op_sel:[0,0,1] op_sel_hi:[1,1,0]
	v_pk_fma_f32 v[8:9], v[8:9], v[30:31], v[78:79] op_sel:[0,0,1] op_sel_hi:[1,0,0] neg_lo:[1,0,0] neg_hi:[1,0,0]
	v_pk_fma_f32 v[30:31], v[0:1], v[42:43], v[82:83] op_sel:[0,0,1] op_sel_hi:[1,1,0]
	v_pk_fma_f32 v[0:1], v[0:1], v[42:43], v[82:83] op_sel:[0,0,1] op_sel_hi:[1,0,0] neg_lo:[1,0,0] neg_hi:[1,0,0]
	v_pk_mul_f32 v[64:65], v[2:3], v[64:65] op_sel_hi:[1,0]
	v_mov_b32_e32 v27, v11
	v_pk_fma_f32 v[24:25], v[18:19], v[40:41], v[66:67] op_sel:[1,0,0] op_sel_hi:[0,1,1]
	v_pk_fma_f32 v[10:11], v[18:19], v[40:41], v[66:67] op_sel:[1,0,0] op_sel_hi:[0,0,1] neg_lo:[0,0,1] neg_hi:[0,0,1]
	v_mov_b32_e32 v31, v1
	v_pk_fma_f32 v[66:67], v[6:7], v[28:29], v[80:81] op_sel:[0,0,1] op_sel_hi:[1,1,0]
	v_pk_fma_f32 v[0:1], v[6:7], v[28:29], v[80:81] op_sel:[0,0,1] op_sel_hi:[1,0,0] neg_lo:[1,0,0] neg_hi:[1,0,0]
	v_pk_mul_f32 v[84:85], v[4:5], v[34:35] op_sel:[0,1]
	v_mov_b32_e32 v67, v1
	v_pk_fma_f32 v[28:29], v[2:3], v[42:43], v[64:65] op_sel:[0,1,1] op_sel_hi:[1,1,0]
	v_pk_fma_f32 v[0:1], v[2:3], v[42:43], v[64:65] op_sel:[0,1,1] op_sel_hi:[1,1,0] neg_lo:[1,0,0] neg_hi:[1,0,0]
	v_pk_mul_f32 v[68:69], v[12:13], v[60:61] op_sel:[0,1]
	v_mov_b32_e32 v29, v1
	v_pk_fma_f32 v[70:71], v[4:5], v[34:35], v[84:85] op_sel:[0,0,1] op_sel_hi:[1,1,0]
	v_pk_fma_f32 v[0:1], v[4:5], v[34:35], v[84:85] op_sel:[0,0,1] op_sel_hi:[1,0,0] neg_lo:[1,0,0] neg_hi:[1,0,0]
	v_pk_mul_f32 v[72:73], v[14:15], v[38:39] op_sel_hi:[1,0]
	v_mov_b32_e32 v71, v1
	v_pk_fma_f32 v[0:1], v[12:13], v[38:39], v[68:69] op_sel:[1,1,0] op_sel_hi:[0,1,1]
	v_pk_fma_f32 v[2:3], v[12:13], v[38:39], v[68:69] op_sel:[1,1,0] op_sel_hi:[0,1,1] neg_lo:[0,0,1] neg_hi:[0,0,1]
	v_mov_b32_e32 v1, v3
	v_pk_fma_f32 v[38:39], v[14:15], v[60:61], v[72:73] op_sel:[0,0,1] op_sel_hi:[1,1,0]
	v_pk_fma_f32 v[2:3], v[14:15], v[60:61], v[72:73] op_sel:[0,0,1] op_sel_hi:[1,0,0] neg_lo:[1,0,0] neg_hi:[1,0,0]
	v_mov_b32_e32 v37, v21
	v_mov_b32_e32 v39, v3
	v_pk_fma_f32 v[60:61], v[16:17], v[40:41], v[76:77] op_sel:[0,1,1] op_sel_hi:[1,1,0]
	v_pk_fma_f32 v[2:3], v[16:17], v[40:41], v[76:77] op_sel:[0,1,1] op_sel_hi:[1,1,0] neg_lo:[1,0,0] neg_hi:[1,0,0]
	v_pk_add_f32 v[68:69], v[0:1], v[32:33]
	v_mov_b32_e32 v61, v3
	v_pk_add_f32 v[76:77], v[36:37], v[38:39]
	v_pk_add_f32 v[78:79], v[38:39], v[36:37] neg_lo:[0,1] neg_hi:[0,1]
	v_pk_add_f32 v[38:39], v[38:39], v[68:69]
	v_mov_b32_e32 v25, v11
	v_mov_b32_e32 v63, v9
	v_pk_add_f32 v[38:39], v[60:61], v[38:39]
	v_pk_add_f32 v[84:85], v[62:63], v[24:25]
	v_pk_add_f32 v[88:89], v[24:25], v[62:63] neg_lo:[0,1] neg_hi:[0,1]
	v_pk_add_f32 v[24:25], v[24:25], v[38:39]
	v_mov_b32_e32 v87, v23
	v_pk_add_f32 v[24:25], v[30:31], v[24:25]
	v_pk_add_f32 v[74:75], v[0:1], v[86:87] neg_lo:[0,1] neg_hi:[0,1]
	v_pk_add_f32 v[24:25], v[28:29], v[24:25]
	s_mov_b32 s8, 0xbeedf032
	v_pk_add_f32 v[24:25], v[70:71], v[24:25]
	v_pk_add_f32 v[72:73], v[86:87], v[0:1]
	;; [unrolled: 1-line block ×3, first 2 shown]
	s_mov_b32 s12, 0x3f62ad3f
	v_pk_add_f32 v[24:25], v[62:63], v[24:25]
	v_pk_mul_f32 v[2:3], v[74:75], s[8:9] op_sel_hi:[1,0]
	v_pk_add_f32 v[24:25], v[26:27], v[24:25]
	v_pk_fma_f32 v[0:1], v[72:73], s[12:13], v[2:3] op_sel:[0,0,1] op_sel_hi:[1,0,0]
	v_pk_fma_f32 v[2:3], v[72:73], s[12:13], v[2:3] op_sel:[0,0,1] op_sel_hi:[1,0,0] neg_lo:[0,0,1] neg_hi:[0,0,1]
	s_mov_b32 s22, 0xbf52af12
	v_pk_add_f32 v[24:25], v[36:37], v[24:25]
	v_pk_add_f32 v[80:81], v[26:27], v[60:61]
	v_pk_add_f32 v[82:83], v[60:61], v[26:27] neg_lo:[0,1] neg_hi:[0,1]
	v_mov_b32_e32 v4, v0
	v_mov_b32_e32 v5, v3
	s_mov_b32 s10, 0x3f116cb1
	v_pk_mul_f32 v[6:7], v[78:79], s[22:23] op_sel_hi:[1,0]
	v_pk_add_f32 v[24:25], v[86:87], v[24:25]
	v_pk_mul_f32 v[26:27], v[74:75], s[22:23] op_sel_hi:[1,0]
	v_pk_add_f32 v[8:9], v[32:33], v[4:5]
	v_pk_fma_f32 v[4:5], v[76:77], s[10:11], v[6:7] op_sel:[0,0,1] op_sel_hi:[1,0,0]
	v_pk_fma_f32 v[6:7], v[76:77], s[10:11], v[6:7] op_sel:[0,0,1] op_sel_hi:[1,0,0] neg_lo:[0,0,1] neg_hi:[0,0,1]
	s_mov_b32 s16, 0xbf6f5d39
	ds_write_b64 v226, v[24:25]
	v_pk_fma_f32 v[24:25], v[72:73], s[10:11], v[26:27] op_sel:[0,0,1] op_sel_hi:[1,0,0]
	v_pk_fma_f32 v[26:27], v[72:73], s[10:11], v[26:27] op_sel:[0,0,1] op_sel_hi:[1,0,0] neg_lo:[0,0,1] neg_hi:[0,0,1]
	v_pk_add_f32 v[42:43], v[66:67], v[30:31]
	v_pk_add_f32 v[64:65], v[30:31], v[66:67] neg_lo:[0,1] neg_hi:[0,1]
	v_pk_add_f32 v[34:35], v[70:71], v[28:29]
	v_pk_add_f32 v[40:41], v[28:29], v[70:71] neg_lo:[0,1] neg_hi:[0,1]
	v_mov_b32_e32 v10, v4
	v_mov_b32_e32 v11, v7
	s_mov_b32 s30, 0xbf7e222b
	s_mov_b32 s14, 0xbeb58ec6
	v_mov_b32_e32 v28, v24
	v_mov_b32_e32 v29, v27
	v_pk_mul_f32 v[30:31], v[78:79], s[16:17] op_sel_hi:[1,0]
	v_pk_add_f32 v[12:13], v[10:11], v[8:9]
	s_mov_b32 s8, 0x3df6dbef
	v_pk_mul_f32 v[10:11], v[82:83], s[30:31] op_sel_hi:[1,0]
	v_pk_add_f32 v[36:37], v[32:33], v[28:29]
	v_pk_fma_f32 v[28:29], v[76:77], s[14:15], v[30:31] op_sel:[0,0,1] op_sel_hi:[1,0,0]
	v_pk_fma_f32 v[30:31], v[76:77], s[14:15], v[30:31] op_sel:[0,0,1] op_sel_hi:[1,0,0] neg_lo:[0,0,1] neg_hi:[0,0,1]
	v_pk_fma_f32 v[8:9], v[80:81], s[8:9], v[10:11] op_sel:[0,0,1] op_sel_hi:[1,0,0]
	v_pk_fma_f32 v[10:11], v[80:81], s[8:9], v[10:11] op_sel:[0,0,1] op_sel_hi:[1,0,0] neg_lo:[0,0,1] neg_hi:[0,0,1]
	s_mov_b32 s26, 0xbe750f2a
	v_mov_b32_e32 v38, v28
	v_mov_b32_e32 v39, v31
	;; [unrolled: 1-line block ×4, first 2 shown]
	s_mov_b32 s24, 0xbf788fa5
	v_pk_add_f32 v[60:61], v[38:39], v[36:37]
	v_pk_mul_f32 v[38:39], v[82:83], s[26:27] op_sel_hi:[1,0]
	v_pk_add_f32 v[16:17], v[14:15], v[12:13]
	v_pk_mul_f32 v[14:15], v[88:89], s[16:17] op_sel_hi:[1,0]
	v_pk_fma_f32 v[36:37], v[80:81], s[24:25], v[38:39] op_sel:[0,0,1] op_sel_hi:[1,0,0]
	v_pk_fma_f32 v[38:39], v[80:81], s[24:25], v[38:39] op_sel:[0,0,1] op_sel_hi:[1,0,0] neg_lo:[0,0,1] neg_hi:[0,0,1]
	v_pk_fma_f32 v[12:13], v[84:85], s[14:15], v[14:15] op_sel:[0,0,1] op_sel_hi:[1,0,0]
	v_pk_fma_f32 v[14:15], v[84:85], s[14:15], v[14:15] op_sel:[0,0,1] op_sel_hi:[1,0,0] neg_lo:[0,0,1] neg_hi:[0,0,1]
	v_mov_b32_e32 v62, v36
	v_mov_b32_e32 v63, v39
	s_mov_b32 s36, 0x3f29c268
	v_mov_b32_e32 v18, v12
	v_mov_b32_e32 v19, v15
	s_mov_b32 s18, 0xbf3f9e67
	s_mov_b32 s20, 0xbf29c268
	v_pk_add_f32 v[66:67], v[62:63], v[60:61]
	v_pk_mul_f32 v[62:63], v[88:89], s[36:37] op_sel_hi:[1,0]
	v_pk_add_f32 v[20:21], v[18:19], v[16:17]
	v_pk_mul_f32 v[18:19], v[64:65], s[20:21] op_sel_hi:[1,0]
	v_pk_fma_f32 v[60:61], v[84:85], s[18:19], v[62:63] op_sel:[0,0,1] op_sel_hi:[1,0,0]
	v_pk_fma_f32 v[62:63], v[84:85], s[18:19], v[62:63] op_sel:[0,0,1] op_sel_hi:[1,0,0] neg_lo:[0,0,1] neg_hi:[0,0,1]
	v_pk_fma_f32 v[16:17], v[42:43], s[18:19], v[18:19] op_sel:[0,0,1] op_sel_hi:[1,0,0]
	v_pk_fma_f32 v[18:19], v[42:43], s[18:19], v[18:19] op_sel:[0,0,1] op_sel_hi:[1,0,0] neg_lo:[0,0,1] neg_hi:[0,0,1]
	v_mov_b32_e32 v68, v60
	v_mov_b32_e32 v69, v63
	s_mov_b32 s28, 0x3f7e222b
	v_mov_b32_e32 v22, v16
	v_mov_b32_e32 v23, v19
	v_pk_add_f32 v[66:67], v[68:69], v[66:67]
	v_pk_mul_f32 v[68:69], v[64:65], s[28:29] op_sel_hi:[1,0]
	v_pk_add_f32 v[90:91], v[22:23], v[20:21]
	v_pk_mul_f32 v[22:23], v[40:41], s[26:27] op_sel_hi:[1,0]
	v_pk_fma_f32 v[70:71], v[42:43], s[8:9], v[68:69] op_sel:[0,0,1] op_sel_hi:[1,0,0]
	v_pk_fma_f32 v[68:69], v[42:43], s[8:9], v[68:69] op_sel:[0,0,1] op_sel_hi:[1,0,0] neg_lo:[0,0,1] neg_hi:[0,0,1]
	v_pk_fma_f32 v[20:21], v[34:35], s[24:25], v[22:23] op_sel:[0,0,1] op_sel_hi:[1,0,0]
	v_pk_fma_f32 v[22:23], v[34:35], s[24:25], v[22:23] op_sel:[0,0,1] op_sel_hi:[1,0,0] neg_lo:[0,0,1] neg_hi:[0,0,1]
	v_mov_b32_e32 v86, v70
	v_mov_b32_e32 v87, v69
	s_mov_b32 s34, 0x3eedf032
	v_mov_b32_e32 v92, v20
	v_mov_b32_e32 v93, v23
	v_pk_add_f32 v[66:67], v[86:87], v[66:67]
	v_pk_mul_f32 v[86:87], v[40:41], s[34:35] op_sel_hi:[1,0]
	v_pk_add_f32 v[90:91], v[92:93], v[90:91]
	v_pk_fma_f32 v[92:93], v[34:35], s[12:13], v[86:87] op_sel:[0,0,1] op_sel_hi:[1,0,0]
	v_pk_fma_f32 v[86:87], v[34:35], s[12:13], v[86:87] op_sel:[0,0,1] op_sel_hi:[1,0,0] neg_lo:[0,0,1] neg_hi:[0,0,1]
	v_mov_b32_e32 v94, v92
	v_mov_b32_e32 v95, v87
	v_lshl_add_u32 v168, v47, 3, v227
	v_pk_add_f32 v[66:67], v[94:95], v[66:67]
	ds_write2_b64 v168, v[90:91], v[66:67] offset0:7 offset1:14
	v_pk_mul_f32 v[66:67], v[74:75], s[30:31] op_sel_hi:[1,0]
	v_pk_mul_f32 v[96:97], v[78:79], s[26:27] op_sel_hi:[1,0]
	v_pk_fma_f32 v[90:91], v[72:73], s[8:9], v[66:67] op_sel:[0,0,1] op_sel_hi:[1,0,0]
	v_pk_fma_f32 v[66:67], v[72:73], s[8:9], v[66:67] op_sel:[0,0,1] op_sel_hi:[1,0,0] neg_lo:[0,0,1] neg_hi:[0,0,1]
	v_mov_b32_e32 v94, v90
	v_mov_b32_e32 v95, v67
	v_pk_fma_f32 v[98:99], v[76:77], s[24:25], v[96:97] op_sel:[0,0,1] op_sel_hi:[1,0,0]
	v_pk_fma_f32 v[96:97], v[76:77], s[24:25], v[96:97] op_sel:[0,0,1] op_sel_hi:[1,0,0] neg_lo:[0,0,1] neg_hi:[0,0,1]
	v_pk_add_f32 v[94:95], v[32:33], v[94:95]
	v_mov_b32_e32 v100, v98
	v_mov_b32_e32 v101, v97
	s_mov_b32 s38, 0x3f6f5d39
	v_pk_add_f32 v[94:95], v[100:101], v[94:95]
	v_pk_mul_f32 v[100:101], v[82:83], s[38:39] op_sel_hi:[1,0]
	v_pk_mul_f32 v[122:123], v[78:79], s[36:37] op_sel_hi:[1,0]
	v_pk_fma_f32 v[102:103], v[80:81], s[14:15], v[100:101] op_sel:[0,0,1] op_sel_hi:[1,0,0]
	v_pk_fma_f32 v[100:101], v[80:81], s[14:15], v[100:101] op_sel:[0,0,1] op_sel_hi:[1,0,0] neg_lo:[0,0,1] neg_hi:[0,0,1]
	v_mov_b32_e32 v104, v102
	v_mov_b32_e32 v105, v101
	v_pk_add_f32 v[94:95], v[104:105], v[94:95]
	v_pk_mul_f32 v[104:105], v[88:89], s[34:35] op_sel_hi:[1,0]
	v_pk_fma_f32 v[124:125], v[76:77], s[18:19], v[122:123] op_sel:[0,0,1] op_sel_hi:[1,0,0]
	v_pk_fma_f32 v[106:107], v[84:85], s[12:13], v[104:105] op_sel:[0,0,1] op_sel_hi:[1,0,0]
	v_pk_fma_f32 v[104:105], v[84:85], s[12:13], v[104:105] op_sel:[0,0,1] op_sel_hi:[1,0,0] neg_lo:[0,0,1] neg_hi:[0,0,1]
	v_mov_b32_e32 v108, v106
	v_mov_b32_e32 v109, v105
	v_pk_add_f32 v[94:95], v[108:109], v[94:95]
	v_pk_mul_f32 v[108:109], v[64:65], s[22:23] op_sel_hi:[1,0]
	v_pk_fma_f32 v[122:123], v[76:77], s[18:19], v[122:123] op_sel:[0,0,1] op_sel_hi:[1,0,0] neg_lo:[0,0,1] neg_hi:[0,0,1]
	v_pk_fma_f32 v[110:111], v[42:43], s[10:11], v[108:109] op_sel:[0,0,1] op_sel_hi:[1,0,0]
	v_pk_fma_f32 v[108:109], v[42:43], s[10:11], v[108:109] op_sel:[0,0,1] op_sel_hi:[1,0,0] neg_lo:[0,0,1] neg_hi:[0,0,1]
	v_mov_b32_e32 v112, v110
	v_mov_b32_e32 v113, v109
	v_pk_add_f32 v[94:95], v[112:113], v[94:95]
	v_pk_mul_f32 v[112:113], v[40:41], s[20:21] op_sel_hi:[1,0]
	v_mov_b32_e32 v126, v124
	v_pk_fma_f32 v[114:115], v[34:35], s[18:19], v[112:113] op_sel:[0,0,1] op_sel_hi:[1,0,0]
	v_pk_fma_f32 v[112:113], v[34:35], s[18:19], v[112:113] op_sel:[0,0,1] op_sel_hi:[1,0,0] neg_lo:[0,0,1] neg_hi:[0,0,1]
	v_mov_b32_e32 v116, v114
	v_mov_b32_e32 v117, v113
	v_pk_add_f32 v[94:95], v[116:117], v[94:95]
	v_pk_mul_f32 v[116:117], v[74:75], s[16:17] op_sel_hi:[1,0]
	v_mov_b32_e32 v127, v123
	v_pk_fma_f32 v[118:119], v[72:73], s[14:15], v[116:117] op_sel:[0,0,1] op_sel_hi:[1,0,0]
	v_pk_fma_f32 v[116:117], v[72:73], s[14:15], v[116:117] op_sel:[0,0,1] op_sel_hi:[1,0,0] neg_lo:[0,0,1] neg_hi:[0,0,1]
	v_mov_b32_e32 v120, v118
	v_mov_b32_e32 v121, v117
	v_pk_add_f32 v[120:121], v[32:33], v[120:121]
	s_mov_b32 s36, 0x3f52af12
	v_pk_add_f32 v[120:121], v[126:127], v[120:121]
	v_pk_mul_f32 v[126:127], v[82:83], s[34:35] op_sel_hi:[1,0]
	v_pk_mul_f32 v[144:145], v[78:79], s[28:29] op_sel_hi:[1,0]
	v_pk_fma_f32 v[128:129], v[80:81], s[12:13], v[126:127] op_sel:[0,0,1] op_sel_hi:[1,0,0]
	v_pk_fma_f32 v[126:127], v[80:81], s[12:13], v[126:127] op_sel:[0,0,1] op_sel_hi:[1,0,0] neg_lo:[0,0,1] neg_hi:[0,0,1]
	v_mov_b32_e32 v130, v128
	v_mov_b32_e32 v131, v127
	v_pk_add_f32 v[120:121], v[130:131], v[120:121]
	v_pk_mul_f32 v[130:131], v[88:89], s[30:31] op_sel_hi:[1,0]
	s_mov_b32 s30, 0x3e750f2a
	v_pk_fma_f32 v[132:133], v[84:85], s[8:9], v[130:131] op_sel:[0,0,1] op_sel_hi:[1,0,0]
	v_pk_fma_f32 v[130:131], v[84:85], s[8:9], v[130:131] op_sel:[0,0,1] op_sel_hi:[1,0,0] neg_lo:[0,0,1] neg_hi:[0,0,1]
	v_mov_b32_e32 v134, v132
	v_mov_b32_e32 v135, v131
	v_pk_add_f32 v[120:121], v[134:135], v[120:121]
	v_pk_mul_f32 v[134:135], v[64:65], s[30:31] op_sel_hi:[1,0]
	v_pk_fma_f32 v[146:147], v[76:77], s[8:9], v[144:145] op_sel:[0,0,1] op_sel_hi:[1,0,0]
	v_pk_fma_f32 v[136:137], v[42:43], s[24:25], v[134:135] op_sel:[0,0,1] op_sel_hi:[1,0,0]
	v_pk_fma_f32 v[134:135], v[42:43], s[24:25], v[134:135] op_sel:[0,0,1] op_sel_hi:[1,0,0] neg_lo:[0,0,1] neg_hi:[0,0,1]
	v_mov_b32_e32 v138, v136
	v_mov_b32_e32 v139, v135
	v_pk_add_f32 v[120:121], v[138:139], v[120:121]
	v_pk_mul_f32 v[138:139], v[40:41], s[36:37] op_sel_hi:[1,0]
	v_pk_fma_f32 v[144:145], v[76:77], s[8:9], v[144:145] op_sel:[0,0,1] op_sel_hi:[1,0,0] neg_lo:[0,0,1] neg_hi:[0,0,1]
	v_pk_fma_f32 v[140:141], v[34:35], s[10:11], v[138:139] op_sel:[0,0,1] op_sel_hi:[1,0,0]
	v_pk_fma_f32 v[138:139], v[34:35], s[10:11], v[138:139] op_sel:[0,0,1] op_sel_hi:[1,0,0] neg_lo:[0,0,1] neg_hi:[0,0,1]
	v_mov_b32_e32 v142, v140
	v_mov_b32_e32 v143, v139
	v_pk_add_f32 v[120:121], v[142:143], v[120:121]
	ds_write2_b64 v168, v[94:95], v[120:121] offset0:21 offset1:28
	v_pk_mul_f32 v[94:95], v[74:75], s[20:21] op_sel_hi:[1,0]
	v_mov_b32_e32 v148, v146
	v_pk_fma_f32 v[120:121], v[72:73], s[18:19], v[94:95] op_sel:[0,0,1] op_sel_hi:[1,0,0]
	v_pk_fma_f32 v[94:95], v[72:73], s[18:19], v[94:95] op_sel:[0,0,1] op_sel_hi:[1,0,0] neg_lo:[0,0,1] neg_hi:[0,0,1]
	v_mov_b32_e32 v142, v120
	v_mov_b32_e32 v143, v95
	v_pk_add_f32 v[142:143], v[32:33], v[142:143]
	v_mov_b32_e32 v149, v145
	v_pk_add_f32 v[142:143], v[148:149], v[142:143]
	v_pk_mul_f32 v[148:149], v[82:83], s[22:23] op_sel_hi:[1,0]
	v_pk_mul_f32 v[74:75], v[74:75], s[26:27] op_sel_hi:[1,0]
	v_pk_fma_f32 v[150:151], v[80:81], s[10:11], v[148:149] op_sel:[0,0,1] op_sel_hi:[1,0,0]
	v_pk_fma_f32 v[148:149], v[80:81], s[10:11], v[148:149] op_sel:[0,0,1] op_sel_hi:[1,0,0] neg_lo:[0,0,1] neg_hi:[0,0,1]
	v_mov_b32_e32 v152, v150
	v_mov_b32_e32 v153, v149
	v_pk_add_f32 v[142:143], v[152:153], v[142:143]
	v_pk_mul_f32 v[152:153], v[88:89], s[30:31] op_sel_hi:[1,0]
	v_pk_mul_f32 v[78:79], v[78:79], s[34:35] op_sel_hi:[1,0]
	v_pk_fma_f32 v[154:155], v[84:85], s[24:25], v[152:153] op_sel:[0,0,1] op_sel_hi:[1,0,0]
	v_pk_fma_f32 v[152:153], v[84:85], s[24:25], v[152:153] op_sel:[0,0,1] op_sel_hi:[1,0,0] neg_lo:[0,0,1] neg_hi:[0,0,1]
	v_mov_b32_e32 v156, v154
	v_mov_b32_e32 v157, v153
	v_pk_add_f32 v[142:143], v[156:157], v[142:143]
	v_pk_mul_f32 v[156:157], v[64:65], s[34:35] op_sel_hi:[1,0]
	v_pk_fma_f32 v[166:167], v[76:77], s[12:13], v[78:79] op_sel:[0,0,1] op_sel_hi:[1,0,0]
	v_pk_fma_f32 v[158:159], v[42:43], s[12:13], v[156:157] op_sel:[0,0,1] op_sel_hi:[1,0,0]
	v_pk_fma_f32 v[156:157], v[42:43], s[12:13], v[156:157] op_sel:[0,0,1] op_sel_hi:[1,0,0] neg_lo:[0,0,1] neg_hi:[0,0,1]
	v_mov_b32_e32 v160, v158
	v_mov_b32_e32 v161, v157
	v_pk_add_f32 v[142:143], v[160:161], v[142:143]
	v_pk_mul_f32 v[160:161], v[40:41], s[16:17] op_sel_hi:[1,0]
	v_pk_fma_f32 v[76:77], v[76:77], s[12:13], v[78:79] op_sel:[0,0,1] op_sel_hi:[1,0,0] neg_lo:[0,0,1] neg_hi:[0,0,1]
	v_pk_fma_f32 v[162:163], v[34:35], s[14:15], v[160:161] op_sel:[0,0,1] op_sel_hi:[1,0,0]
	v_pk_fma_f32 v[160:161], v[34:35], s[14:15], v[160:161] op_sel:[0,0,1] op_sel_hi:[1,0,0] neg_lo:[0,0,1] neg_hi:[0,0,1]
	v_mov_b32_e32 v164, v162
	v_mov_b32_e32 v165, v161
	v_pk_add_f32 v[142:143], v[164:165], v[142:143]
	v_pk_fma_f32 v[164:165], v[72:73], s[24:25], v[74:75] op_sel:[0,0,1] op_sel_hi:[1,0,0]
	v_pk_fma_f32 v[72:73], v[72:73], s[24:25], v[74:75] op_sel:[0,0,1] op_sel_hi:[1,0,0] neg_lo:[0,0,1] neg_hi:[0,0,1]
	v_mov_b32_e32 v74, v164
	v_mov_b32_e32 v75, v73
	v_pk_add_f32 v[74:75], v[32:33], v[74:75]
	v_mov_b32_e32 v78, v166
	v_mov_b32_e32 v79, v77
	v_pk_add_f32 v[74:75], v[78:79], v[74:75]
	v_pk_mul_f32 v[78:79], v[82:83], s[20:21] op_sel_hi:[1,0]
	v_pk_mul_f32 v[64:65], v[64:65], s[16:17] op_sel_hi:[1,0]
	v_pk_fma_f32 v[82:83], v[80:81], s[18:19], v[78:79] op_sel:[0,0,1] op_sel_hi:[1,0,0]
	v_pk_fma_f32 v[78:79], v[80:81], s[18:19], v[78:79] op_sel:[0,0,1] op_sel_hi:[1,0,0] neg_lo:[0,0,1] neg_hi:[0,0,1]
	v_mov_b32_e32 v80, v82
	v_mov_b32_e32 v81, v79
	v_pk_add_f32 v[74:75], v[80:81], v[74:75]
	v_pk_mul_f32 v[80:81], v[88:89], s[36:37] op_sel_hi:[1,0]
	v_pk_mul_f32 v[40:41], v[40:41], s[28:29] op_sel_hi:[1,0]
	v_pk_fma_f32 v[88:89], v[84:85], s[10:11], v[80:81] op_sel:[0,0,1] op_sel_hi:[1,0,0]
	v_pk_fma_f32 v[80:81], v[84:85], s[10:11], v[80:81] op_sel:[0,0,1] op_sel_hi:[1,0,0] neg_lo:[0,0,1] neg_hi:[0,0,1]
	v_mov_b32_e32 v84, v88
	v_mov_b32_e32 v85, v81
	v_pk_add_f32 v[74:75], v[84:85], v[74:75]
	v_pk_fma_f32 v[84:85], v[42:43], s[14:15], v[64:65] op_sel:[0,0,1] op_sel_hi:[1,0,0]
	v_pk_fma_f32 v[42:43], v[42:43], s[14:15], v[64:65] op_sel:[0,0,1] op_sel_hi:[1,0,0] neg_lo:[0,0,1] neg_hi:[0,0,1]
	v_mov_b32_e32 v64, v84
	v_mov_b32_e32 v65, v43
	v_pk_add_f32 v[64:65], v[64:65], v[74:75]
	;; [unrolled: 5-line block ×3, first 2 shown]
	v_mov_b32_e32 v73, v165
	ds_write2_b64 v168, v[142:143], v[40:41] offset0:35 offset1:42
	v_pk_add_f32 v[40:41], v[32:33], v[72:73]
	v_mov_b32_e32 v77, v167
	v_pk_add_f32 v[40:41], v[76:77], v[40:41]
	v_mov_b32_e32 v79, v83
	;; [unrolled: 2-line block ×5, first 2 shown]
	v_mov_b32_e32 v95, v121
	v_pk_add_f32 v[34:35], v[34:35], v[40:41]
	v_pk_add_f32 v[40:41], v[32:33], v[94:95]
	v_mov_b32_e32 v145, v147
	v_pk_add_f32 v[40:41], v[144:145], v[40:41]
	v_mov_b32_e32 v149, v151
	;; [unrolled: 2-line block ×6, first 2 shown]
	v_mov_b32_e32 v67, v91
	v_mov_b32_e32 v27, v25
	v_mov_b32_e32 v3, v1
	ds_write2_b64 v168, v[34:35], v[40:41] offset0:49 offset1:56
	v_pk_add_f32 v[34:35], v[32:33], v[116:117]
	v_mov_b32_e32 v123, v125
	v_pk_add_f32 v[40:41], v[32:33], v[66:67]
	v_mov_b32_e32 v97, v99
	;; [unrolled: 2-line block ×20, first 2 shown]
	v_pk_add_f32 v[34:35], v[138:139], v[34:35]
	v_pk_add_f32 v[40:41], v[112:113], v[40:41]
	;; [unrolled: 1-line block ×4, first 2 shown]
	ds_write2_b64 v168, v[34:35], v[40:41] offset0:63 offset1:70
	ds_write2_b64 v168, v[24:25], v[0:1] offset0:77 offset1:84
.LBB0_9:
	s_or_b64 exec, exec, s[0:1]
	s_waitcnt lgkmcnt(0)
	s_barrier
	ds_read2_b64 v[0:3], v226 offset1:13
	v_mad_u64_u32 v[6:7], s[0:1], s6, v46, 0
	v_mov_b32_e32 v8, v7
	v_mad_u64_u32 v[8:9], s[0:1], s7, v46, v[8:9]
	v_mov_b32_e32 v7, v8
	s_waitcnt lgkmcnt(0)
	v_mul_f32_e32 v8, v59, v1
	v_fmac_f32_e32 v8, v58, v0
	v_mul_f32_e32 v0, v59, v0
	s_mov_b32 s0, 0x16816817
	v_fma_f32 v0, v58, v1, -v0
	v_cvt_f64_f32_e32 v[8:9], v8
	s_mov_b32 s1, 0x3f868168
	v_cvt_f64_f32_e32 v[0:1], v0
	v_mul_f64 v[8:9], v[8:9], s[0:1]
	v_mul_f64 v[0:1], v[0:1], s[0:1]
	v_mov_b32_e32 v4, s2
	v_mov_b32_e32 v5, s3
	v_cvt_f32_f64_e32 v8, v[8:9]
	v_cvt_f32_f64_e32 v9, v[0:1]
	v_mad_u64_u32 v[0:1], s[2:3], s4, v47, 0
	v_mov_b32_e32 v10, v1
	v_mad_u64_u32 v[10:11], s[2:3], s5, v47, v[10:11]
	v_mov_b32_e32 v1, v10
	v_lshl_add_u64 v[4:5], v[6:7], 3, v[4:5]
	v_lshl_add_u64 v[4:5], v[0:1], 3, v[4:5]
	v_mul_f32_e32 v0, v57, v3
	v_fmac_f32_e32 v0, v56, v2
	v_cvt_f64_f32_e32 v[0:1], v0
	v_mul_f64 v[0:1], v[0:1], s[0:1]
	v_cvt_f32_f64_e32 v6, v[0:1]
	v_mul_f32_e32 v0, v57, v2
	v_fma_f32 v0, v56, v3, -v0
	v_cvt_f64_f32_e32 v[0:1], v0
	v_mul_f64 v[0:1], v[0:1], s[0:1]
	v_cvt_f32_f64_e32 v7, v[0:1]
	ds_read2_b64 v[0:3], v226 offset0:26 offset1:39
	global_store_dwordx2 v[4:5], v[8:9], off
	v_mov_b32_e32 v8, 0x68
	v_mad_u64_u32 v[4:5], s[2:3], s4, v8, v[4:5]
	s_mulk_i32 s5, 0x68
	v_add_u32_e32 v5, s5, v5
	global_store_dwordx2 v[4:5], v[6:7], off
	s_waitcnt lgkmcnt(0)
	v_mul_f32_e32 v6, v55, v1
	v_fmac_f32_e32 v6, v54, v0
	v_mul_f32_e32 v0, v55, v0
	v_fma_f32 v0, v54, v1, -v0
	v_cvt_f64_f32_e32 v[6:7], v6
	v_cvt_f64_f32_e32 v[0:1], v0
	v_mul_f64 v[6:7], v[6:7], s[0:1]
	v_mul_f64 v[0:1], v[0:1], s[0:1]
	v_cvt_f32_f64_e32 v6, v[6:7]
	v_cvt_f32_f64_e32 v7, v[0:1]
	v_mul_f32_e32 v0, v53, v3
	v_fmac_f32_e32 v0, v52, v2
	v_mad_u64_u32 v[4:5], s[2:3], s4, v8, v[4:5]
	v_cvt_f64_f32_e32 v[0:1], v0
	v_add_u32_e32 v5, s5, v5
	v_mul_f64 v[0:1], v[0:1], s[0:1]
	global_store_dwordx2 v[4:5], v[6:7], off
	v_cvt_f32_f64_e32 v6, v[0:1]
	v_mul_f32_e32 v0, v53, v2
	v_fma_f32 v0, v52, v3, -v0
	v_cvt_f64_f32_e32 v[0:1], v0
	v_mul_f64 v[0:1], v[0:1], s[0:1]
	v_cvt_f32_f64_e32 v7, v[0:1]
	ds_read2_b64 v[0:3], v226 offset0:52 offset1:65
	v_mad_u64_u32 v[4:5], s[2:3], s4, v8, v[4:5]
	v_add_u32_e32 v5, s5, v5
	global_store_dwordx2 v[4:5], v[6:7], off
	s_waitcnt lgkmcnt(0)
	v_mul_f32_e32 v6, v51, v1
	v_fmac_f32_e32 v6, v50, v0
	v_mul_f32_e32 v0, v51, v0
	v_fma_f32 v0, v50, v1, -v0
	v_cvt_f64_f32_e32 v[6:7], v6
	v_cvt_f64_f32_e32 v[0:1], v0
	v_mul_f64 v[6:7], v[6:7], s[0:1]
	v_mul_f64 v[0:1], v[0:1], s[0:1]
	v_cvt_f32_f64_e32 v6, v[6:7]
	v_cvt_f32_f64_e32 v7, v[0:1]
	v_mad_u64_u32 v[0:1], s[2:3], s4, v8, v[4:5]
	v_mul_f32_e32 v4, v49, v3
	v_fmac_f32_e32 v4, v48, v2
	v_mul_f32_e32 v2, v49, v2
	v_fma_f32 v2, v48, v3, -v2
	v_cvt_f64_f32_e32 v[4:5], v4
	v_cvt_f64_f32_e32 v[2:3], v2
	v_mul_f64 v[4:5], v[4:5], s[0:1]
	v_mul_f64 v[2:3], v[2:3], s[0:1]
	v_cvt_f32_f64_e32 v4, v[4:5]
	v_cvt_f32_f64_e32 v5, v[2:3]
	ds_read_b64 v[2:3], v226 offset:624
	v_add_u32_e32 v1, s5, v1
	global_store_dwordx2 v[0:1], v[6:7], off
	v_mad_u64_u32 v[0:1], s[2:3], s4, v8, v[0:1]
	v_add_u32_e32 v1, s5, v1
	global_store_dwordx2 v[0:1], v[4:5], off
	s_waitcnt lgkmcnt(0)
	v_mul_f32_e32 v4, v45, v3
	v_fmac_f32_e32 v4, v44, v2
	v_mul_f32_e32 v2, v45, v2
	v_fma_f32 v2, v44, v3, -v2
	v_cvt_f64_f32_e32 v[4:5], v4
	v_cvt_f64_f32_e32 v[2:3], v2
	v_mul_f64 v[4:5], v[4:5], s[0:1]
	v_mul_f64 v[2:3], v[2:3], s[0:1]
	v_mad_u64_u32 v[0:1], s[0:1], s4, v8, v[0:1]
	v_cvt_f32_f64_e32 v4, v[4:5]
	v_cvt_f32_f64_e32 v5, v[2:3]
	v_add_u32_e32 v1, s5, v1
	global_store_dwordx2 v[0:1], v[4:5], off
.LBB0_10:
	s_endpgm
	.section	.rodata,"a",@progbits
	.p2align	6, 0x0
	.amdhsa_kernel bluestein_single_fwd_len91_dim1_sp_op_CI_CI
		.amdhsa_group_segment_fixed_size 13832
		.amdhsa_private_segment_fixed_size 0
		.amdhsa_kernarg_size 104
		.amdhsa_user_sgpr_count 2
		.amdhsa_user_sgpr_dispatch_ptr 0
		.amdhsa_user_sgpr_queue_ptr 0
		.amdhsa_user_sgpr_kernarg_segment_ptr 1
		.amdhsa_user_sgpr_dispatch_id 0
		.amdhsa_user_sgpr_kernarg_preload_length 0
		.amdhsa_user_sgpr_kernarg_preload_offset 0
		.amdhsa_user_sgpr_private_segment_size 0
		.amdhsa_uses_dynamic_stack 0
		.amdhsa_enable_private_segment 0
		.amdhsa_system_sgpr_workgroup_id_x 1
		.amdhsa_system_sgpr_workgroup_id_y 0
		.amdhsa_system_sgpr_workgroup_id_z 0
		.amdhsa_system_sgpr_workgroup_info 0
		.amdhsa_system_vgpr_workitem_id 0
		.amdhsa_next_free_vgpr 236
		.amdhsa_next_free_sgpr 40
		.amdhsa_accum_offset 236
		.amdhsa_reserve_vcc 1
		.amdhsa_float_round_mode_32 0
		.amdhsa_float_round_mode_16_64 0
		.amdhsa_float_denorm_mode_32 3
		.amdhsa_float_denorm_mode_16_64 3
		.amdhsa_dx10_clamp 1
		.amdhsa_ieee_mode 1
		.amdhsa_fp16_overflow 0
		.amdhsa_tg_split 0
		.amdhsa_exception_fp_ieee_invalid_op 0
		.amdhsa_exception_fp_denorm_src 0
		.amdhsa_exception_fp_ieee_div_zero 0
		.amdhsa_exception_fp_ieee_overflow 0
		.amdhsa_exception_fp_ieee_underflow 0
		.amdhsa_exception_fp_ieee_inexact 0
		.amdhsa_exception_int_div_zero 0
	.end_amdhsa_kernel
	.text
.Lfunc_end0:
	.size	bluestein_single_fwd_len91_dim1_sp_op_CI_CI, .Lfunc_end0-bluestein_single_fwd_len91_dim1_sp_op_CI_CI
                                        ; -- End function
	.section	.AMDGPU.csdata,"",@progbits
; Kernel info:
; codeLenInByte = 8592
; NumSgprs: 46
; NumVgprs: 236
; NumAgprs: 0
; TotalNumVgprs: 236
; ScratchSize: 0
; MemoryBound: 0
; FloatMode: 240
; IeeeMode: 1
; LDSByteSize: 13832 bytes/workgroup (compile time only)
; SGPRBlocks: 5
; VGPRBlocks: 29
; NumSGPRsForWavesPerEU: 46
; NumVGPRsForWavesPerEU: 236
; AccumOffset: 236
; Occupancy: 2
; WaveLimiterHint : 1
; COMPUTE_PGM_RSRC2:SCRATCH_EN: 0
; COMPUTE_PGM_RSRC2:USER_SGPR: 2
; COMPUTE_PGM_RSRC2:TRAP_HANDLER: 0
; COMPUTE_PGM_RSRC2:TGID_X_EN: 1
; COMPUTE_PGM_RSRC2:TGID_Y_EN: 0
; COMPUTE_PGM_RSRC2:TGID_Z_EN: 0
; COMPUTE_PGM_RSRC2:TIDIG_COMP_CNT: 0
; COMPUTE_PGM_RSRC3_GFX90A:ACCUM_OFFSET: 58
; COMPUTE_PGM_RSRC3_GFX90A:TG_SPLIT: 0
	.text
	.p2alignl 6, 3212836864
	.fill 256, 4, 3212836864
	.type	__hip_cuid_4ec95ff2ae5a6acb,@object ; @__hip_cuid_4ec95ff2ae5a6acb
	.section	.bss,"aw",@nobits
	.globl	__hip_cuid_4ec95ff2ae5a6acb
__hip_cuid_4ec95ff2ae5a6acb:
	.byte	0                               ; 0x0
	.size	__hip_cuid_4ec95ff2ae5a6acb, 1

	.ident	"AMD clang version 19.0.0git (https://github.com/RadeonOpenCompute/llvm-project roc-6.4.0 25133 c7fe45cf4b819c5991fe208aaa96edf142730f1d)"
	.section	".note.GNU-stack","",@progbits
	.addrsig
	.addrsig_sym __hip_cuid_4ec95ff2ae5a6acb
	.amdgpu_metadata
---
amdhsa.kernels:
  - .agpr_count:     0
    .args:
      - .actual_access:  read_only
        .address_space:  global
        .offset:         0
        .size:           8
        .value_kind:     global_buffer
      - .actual_access:  read_only
        .address_space:  global
        .offset:         8
        .size:           8
        .value_kind:     global_buffer
      - .actual_access:  read_only
        .address_space:  global
        .offset:         16
        .size:           8
        .value_kind:     global_buffer
      - .actual_access:  read_only
        .address_space:  global
        .offset:         24
        .size:           8
        .value_kind:     global_buffer
      - .actual_access:  read_only
        .address_space:  global
        .offset:         32
        .size:           8
        .value_kind:     global_buffer
      - .offset:         40
        .size:           8
        .value_kind:     by_value
      - .address_space:  global
        .offset:         48
        .size:           8
        .value_kind:     global_buffer
      - .address_space:  global
        .offset:         56
        .size:           8
        .value_kind:     global_buffer
      - .address_space:  global
        .offset:         64
        .size:           8
        .value_kind:     global_buffer
      - .address_space:  global
        .offset:         72
        .size:           8
        .value_kind:     global_buffer
      - .offset:         80
        .size:           4
        .value_kind:     by_value
      - .address_space:  global
        .offset:         88
        .size:           8
        .value_kind:     global_buffer
      - .address_space:  global
        .offset:         96
        .size:           8
        .value_kind:     global_buffer
    .group_segment_fixed_size: 13832
    .kernarg_segment_align: 8
    .kernarg_segment_size: 104
    .language:       OpenCL C
    .language_version:
      - 2
      - 0
    .max_flat_workgroup_size: 247
    .name:           bluestein_single_fwd_len91_dim1_sp_op_CI_CI
    .private_segment_fixed_size: 0
    .sgpr_count:     46
    .sgpr_spill_count: 0
    .symbol:         bluestein_single_fwd_len91_dim1_sp_op_CI_CI.kd
    .uniform_work_group_size: 1
    .uses_dynamic_stack: false
    .vgpr_count:     236
    .vgpr_spill_count: 0
    .wavefront_size: 64
amdhsa.target:   amdgcn-amd-amdhsa--gfx950
amdhsa.version:
  - 1
  - 2
...

	.end_amdgpu_metadata
